;; amdgpu-corpus repo=ROCm/rocFFT kind=compiled arch=gfx90a opt=O3
	.text
	.amdgcn_target "amdgcn-amd-amdhsa--gfx90a"
	.amdhsa_code_object_version 6
	.protected	bluestein_single_fwd_len1701_dim1_dp_op_CI_CI ; -- Begin function bluestein_single_fwd_len1701_dim1_dp_op_CI_CI
	.globl	bluestein_single_fwd_len1701_dim1_dp_op_CI_CI
	.p2align	8
	.type	bluestein_single_fwd_len1701_dim1_dp_op_CI_CI,@function
bluestein_single_fwd_len1701_dim1_dp_op_CI_CI: ; @bluestein_single_fwd_len1701_dim1_dp_op_CI_CI
; %bb.0:
	s_load_dwordx4 s[16:19], s[4:5], 0x28
	s_mov_b64 s[38:39], s[2:3]
	s_mov_b64 s[36:37], s[0:1]
	v_mul_u32_u24_e32 v1, 0x411, v0
	s_add_u32 s36, s36, s7
	v_add_u32_sdwa v6, s6, v1 dst_sel:DWORD dst_unused:UNUSED_PAD src0_sel:DWORD src1_sel:WORD_1
	v_mov_b32_e32 v7, 0
	s_addc_u32 s37, s37, 0
	s_waitcnt lgkmcnt(0)
	v_cmp_gt_u64_e32 vcc, s[16:17], v[6:7]
	s_and_saveexec_b64 s[0:1], vcc
	s_cbranch_execz .LBB0_10
; %bb.1:
	s_load_dwordx4 s[8:11], s[4:5], 0x18
	s_load_dwordx4 s[12:15], s[4:5], 0x0
	v_mov_b32_e32 v2, 63
	v_mul_lo_u16_sdwa v1, v1, v2 dst_sel:DWORD dst_unused:UNUSED_PAD src0_sel:WORD_1 src1_sel:DWORD
	v_sub_u16_e32 v174, v0, v1
	s_waitcnt lgkmcnt(0)
	s_load_dwordx4 s[0:3], s[8:9], 0x0
	v_lshlrev_b32_e32 v116, 4, v174
	global_load_dwordx4 v[106:109], v116, s[12:13]
	v_mov_b32_e32 v54, 0x2370
	v_accvgpr_write_b32 a90, v6
	s_waitcnt lgkmcnt(0)
	v_mad_u64_u32 v[0:1], s[6:7], s2, v6, 0
	v_mov_b32_e32 v4, v1
	v_mad_u64_u32 v[2:3], s[6:7], s0, v174, 0
	v_mad_u64_u32 v[4:5], s[2:3], s3, v6, v[4:5]
	v_mov_b32_e32 v1, v4
	v_mov_b32_e32 v4, v3
	v_mad_u64_u32 v[4:5], s[2:3], s1, v174, v[4:5]
	v_lshlrev_b64 v[0:1], 4, v[0:1]
	v_mov_b32_e32 v3, v4
	v_mov_b32_e32 v4, s19
	v_add_co_u32_e32 v5, vcc, s18, v0
	v_addc_co_u32_e32 v4, vcc, v4, v1, vcc
	v_lshlrev_b64 v[0:1], 4, v[2:3]
	v_add_co_u32_e32 v0, vcc, v5, v0
	v_addc_co_u32_e32 v1, vcc, v4, v1, vcc
	global_load_dwordx4 v[40:43], v[0:1], off
	v_mad_u64_u32 v[4:5], s[2:3], s0, v54, v[0:1]
	s_mul_i32 s2, s1, 0x2370
	v_add_u32_e32 v5, s2, v5
	v_mad_u64_u32 v[6:7], s[6:7], s0, v54, v[4:5]
	v_add_u32_e32 v7, s2, v7
	v_mov_b32_e32 v57, 0xffffbd10
	s_mulk_i32 s1, 0xbd10
	v_mad_u64_u32 v[8:9], s[6:7], s0, v57, v[6:7]
	s_sub_i32 s1, s1, s0
	v_add_u32_e32 v9, s1, v9
	v_mad_u64_u32 v[12:13], s[6:7], s0, v54, v[8:9]
	v_add_u32_e32 v13, s2, v13
	v_mad_u64_u32 v[16:17], s[6:7], s0, v54, v[12:13]
	v_add_u32_e32 v17, s2, v17
	v_mad_u64_u32 v[20:21], s[6:7], s0, v57, v[16:17]
	v_add_u32_e32 v21, s1, v21
	v_mad_u64_u32 v[24:25], s[6:7], s0, v54, v[20:21]
	v_add_u32_e32 v25, s2, v25
	v_mov_b32_e32 v2, s13
	v_add_co_u32_e32 v55, vcc, s12, v116
	v_mad_u64_u32 v[28:29], s[6:7], s0, v54, v[24:25]
	v_addc_co_u32_e32 v56, vcc, 0, v2, vcc
	s_movk_i32 s3, 0x2000
	v_add_u32_e32 v29, s2, v29
	v_add_co_u32_e32 v36, vcc, s3, v55
	v_mad_u64_u32 v[32:33], s[6:7], s0, v57, v[28:29]
	v_addc_co_u32_e32 v37, vcc, 0, v56, vcc
	s_movk_i32 s3, 0x4000
	v_add_u32_e32 v33, s1, v33
	v_add_co_u32_e32 v48, vcc, s3, v55
	v_mad_u64_u32 v[38:39], s[6:7], s0, v54, v[32:33]
	global_load_dwordx4 v[62:65], v[36:37], off offset:880
	v_addc_co_u32_e32 v49, vcc, 0, v56, vcc
	v_add_u32_e32 v39, s2, v39
	s_movk_i32 s3, 0x5000
	global_load_dwordx4 v[44:47], v[4:5], off
	global_load_dwordx4 v[0:3], v[6:7], off
	v_mad_u64_u32 v[52:53], s[6:7], s0, v54, v[38:39]
	v_add_co_u32_e32 v50, vcc, s3, v55
	v_add_u32_e32 v53, s2, v53
	v_addc_co_u32_e32 v51, vcc, 0, v56, vcc
	global_load_dwordx4 v[66:69], v[48:49], off offset:1760
	global_load_dwordx4 v[70:73], v116, s[12:13] offset:1008
	global_load_dwordx4 v[4:7], v[8:9], off
	s_nop 0
	global_load_dwordx4 v[8:11], v[12:13], off
	global_load_dwordx4 v[74:77], v[36:37], off offset:1888
	s_nop 0
	global_load_dwordx4 v[12:15], v[16:17], off
	global_load_dwordx4 v[78:81], v[48:49], off offset:2768
	s_nop 0
	global_load_dwordx4 v[16:19], v[20:21], off
	global_load_dwordx4 v[82:85], v116, s[12:13] offset:2016
	s_nop 0
	global_load_dwordx4 v[20:23], v[24:25], off
	global_load_dwordx4 v[86:89], v[36:37], off offset:2896
	s_nop 0
	global_load_dwordx4 v[24:27], v[28:29], off
	global_load_dwordx4 v[90:93], v[48:49], off offset:3776
	s_nop 0
	global_load_dwordx4 v[28:31], v[32:33], off
	global_load_dwordx4 v[94:97], v116, s[12:13] offset:3024
	s_nop 0
	global_load_dwordx4 v[32:35], v[38:39], off
	global_load_dwordx4 v[98:101], v[36:37], off offset:3904
	global_load_dwordx4 v[102:105], v[50:51], off offset:688
	s_load_dwordx4 s[8:11], s[10:11], 0x0
	global_load_dwordx4 v[36:39], v[52:53], off
	v_add_co_u32_e32 v124, vcc, 63, v174
	s_movk_i32 s3, 0x7e
	v_addc_co_u32_e64 v125, s[6:7], 0, 0, vcc
	v_add_co_u32_e32 v121, vcc, s3, v174
	s_movk_i32 s3, 0xbd
	s_waitcnt vmcnt(22)
	v_mul_f64 v[58:59], v[42:43], v[108:109]
	v_fmac_f64_e32 v[58:59], v[40:41], v[106:107]
	v_mul_f64 v[40:41], v[40:41], v[108:109]
	buffer_store_dword v106, off, s[36:39], 0 offset:488 ; 4-byte Folded Spill
	s_nop 0
	buffer_store_dword v107, off, s[36:39], 0 offset:492 ; 4-byte Folded Spill
	buffer_store_dword v108, off, s[36:39], 0 offset:496 ; 4-byte Folded Spill
	;; [unrolled: 1-line block ×3, first 2 shown]
	v_add_co_u32_e32 v118, vcc, s3, v174
	s_movk_i32 s3, 0xfc
	v_accvgpr_write_b32 a44, v174
	v_fma_f64 v[60:61], v[42:43], v[106:107], -v[40:41]
	s_waitcnt vmcnt(24)
	v_mul_f64 v[40:41], v[46:47], v[64:65]
	ds_write_b128 v116, v[58:61]
	v_fmac_f64_e32 v[40:41], v[44:45], v[62:63]
	v_mul_f64 v[42:43], v[44:45], v[64:65]
	buffer_store_dword v62, off, s[36:39], 0 offset:16 ; 4-byte Folded Spill
	s_nop 0
	buffer_store_dword v63, off, s[36:39], 0 offset:20 ; 4-byte Folded Spill
	buffer_store_dword v64, off, s[36:39], 0 offset:24 ; 4-byte Folded Spill
	;; [unrolled: 1-line block ×3, first 2 shown]
	global_load_dwordx4 v[106:109], v[48:49], off offset:752
	v_fma_f64 v[42:43], v[46:47], v[62:63], -v[42:43]
	ds_write_b128 v116, v[40:43] offset:9072
	s_waitcnt vmcnt(27)
	v_mul_f64 v[40:41], v[2:3], v[68:69]
	v_fmac_f64_e32 v[40:41], v[0:1], v[66:67]
	v_mul_f64 v[0:1], v[0:1], v[68:69]
	buffer_store_dword v66, off, s[36:39], 0 offset:300 ; 4-byte Folded Spill
	s_nop 0
	buffer_store_dword v67, off, s[36:39], 0 offset:304 ; 4-byte Folded Spill
	buffer_store_dword v68, off, s[36:39], 0 offset:308 ; 4-byte Folded Spill
	;; [unrolled: 1-line block ×3, first 2 shown]
	v_fma_f64 v[42:43], v[2:3], v[66:67], -v[0:1]
	s_waitcnt vmcnt(29)
	v_mul_f64 v[0:1], v[6:7], v[72:73]
	ds_write_b128 v116, v[40:43] offset:18144
	v_fmac_f64_e32 v[0:1], v[4:5], v[70:71]
	v_mul_f64 v[2:3], v[4:5], v[72:73]
	buffer_store_dword v70, off, s[36:39], 0 offset:284 ; 4-byte Folded Spill
	s_nop 0
	buffer_store_dword v71, off, s[36:39], 0 offset:288 ; 4-byte Folded Spill
	buffer_store_dword v72, off, s[36:39], 0 offset:292 ; 4-byte Folded Spill
	;; [unrolled: 1-line block ×3, first 2 shown]
	v_fma_f64 v[2:3], v[6:7], v[70:71], -v[2:3]
	ds_write_b128 v116, v[0:3] offset:1008
	s_waitcnt vmcnt(31)
	v_mul_f64 v[0:1], v[10:11], v[76:77]
	v_fmac_f64_e32 v[0:1], v[8:9], v[74:75]
	v_mul_f64 v[2:3], v[8:9], v[76:77]
	buffer_store_dword v74, off, s[36:39], 0 offset:264 ; 4-byte Folded Spill
	s_nop 0
	buffer_store_dword v75, off, s[36:39], 0 offset:268 ; 4-byte Folded Spill
	buffer_store_dword v76, off, s[36:39], 0 offset:272 ; 4-byte Folded Spill
	;; [unrolled: 1-line block ×3, first 2 shown]
	v_mad_u64_u32 v[8:9], s[6:7], s0, v57, v[52:53]
	v_add_u32_e32 v9, s1, v9
	v_fma_f64 v[2:3], v[10:11], v[74:75], -v[2:3]
	ds_write_b128 v116, v[0:3] offset:10080
	s_waitcnt vmcnt(33)
	v_mul_f64 v[0:1], v[14:15], v[80:81]
	v_fmac_f64_e32 v[0:1], v[12:13], v[78:79]
	v_mul_f64 v[2:3], v[12:13], v[80:81]
	buffer_store_dword v78, off, s[36:39], 0 offset:244 ; 4-byte Folded Spill
	s_nop 0
	buffer_store_dword v79, off, s[36:39], 0 offset:248 ; 4-byte Folded Spill
	buffer_store_dword v80, off, s[36:39], 0 offset:252 ; 4-byte Folded Spill
	buffer_store_dword v81, off, s[36:39], 0 offset:256 ; 4-byte Folded Spill
	v_fma_f64 v[2:3], v[14:15], v[78:79], -v[2:3]
	ds_write_b128 v116, v[0:3] offset:19152
	s_waitcnt vmcnt(35)
	v_mul_f64 v[0:1], v[18:19], v[84:85]
	v_fmac_f64_e32 v[0:1], v[16:17], v[82:83]
	v_mul_f64 v[2:3], v[16:17], v[84:85]
	buffer_store_dword v82, off, s[36:39], 0 offset:204 ; 4-byte Folded Spill
	s_nop 0
	buffer_store_dword v83, off, s[36:39], 0 offset:208 ; 4-byte Folded Spill
	buffer_store_dword v84, off, s[36:39], 0 offset:212 ; 4-byte Folded Spill
	buffer_store_dword v85, off, s[36:39], 0 offset:216 ; 4-byte Folded Spill
	;; [unrolled: 11-line block ×6, first 2 shown]
	global_load_dwordx4 v[4:7], v[8:9], off
	global_load_dwordx4 v[130:133], v116, s[12:13] offset:4032
	v_mad_u64_u32 v[8:9], s[6:7], s0, v54, v[8:9]
	v_add_u32_e32 v9, s2, v9
	s_movk_i32 s6, 0x3000
	v_add_co_u32_e32 v44, vcc, s6, v55
	v_mad_u64_u32 v[12:13], s[6:7], s0, v54, v[8:9]
	v_add_u32_e32 v13, s2, v13
	v_mad_u64_u32 v[16:17], s[6:7], s0, v57, v[12:13]
	v_addc_co_u32_e32 v45, vcc, 0, v56, vcc
	v_add_u32_e32 v17, s1, v17
	s_movk_i32 s6, 0x1000
	v_add_co_u32_e32 v52, vcc, s6, v55
	v_mad_u64_u32 v[20:21], s[6:7], s0, v54, v[16:17]
	v_add_u32_e32 v21, s2, v21
	v_mad_u64_u32 v[24:25], s[6:7], s0, v54, v[20:21]
	v_add_u32_e32 v25, s2, v25
	;; [unrolled: 2-line block ×4, first 2 shown]
	v_addc_co_u32_e32 v53, vcc, 0, v56, vcc
	v_fma_f64 v[2:3], v[34:35], v[98:99], -v[2:3]
	ds_write_b128 v116, v[0:3] offset:12096
	s_waitcnt vmcnt(47)
	v_mul_f64 v[0:1], v[38:39], v[104:105]
	global_load_dwordx4 v[96:99], v[50:51], off offset:1696
	v_fmac_f64_e32 v[0:1], v[36:37], v[102:103]
	v_mul_f64 v[2:3], v[36:37], v[104:105]
	buffer_store_dword v102, off, s[36:39], 0 offset:88 ; 4-byte Folded Spill
	s_nop 0
	buffer_store_dword v103, off, s[36:39], 0 offset:92 ; 4-byte Folded Spill
	buffer_store_dword v104, off, s[36:39], 0 offset:96 ; 4-byte Folded Spill
	buffer_store_dword v105, off, s[36:39], 0 offset:100 ; 4-byte Folded Spill
	v_mad_u64_u32 v[36:37], s[6:7], s0, v54, v[32:33]
	v_add_u32_e32 v37, s2, v37
	v_mad_u64_u32 v[40:41], s[6:7], s0, v57, v[36:37]
	v_add_u32_e32 v41, s1, v41
	;; [unrolled: 2-line block ×3, first 2 shown]
	global_load_dwordx4 v[134:137], v[44:45], off offset:816
	global_load_dwordx4 v[126:129], v[52:53], off offset:944
	s_waitcnt vmcnt(7)
	v_mul_f64 v[48:49], v[6:7], v[132:133]
	v_fmac_f64_e32 v[48:49], v[4:5], v[130:131]
	v_mul_f64 v[4:5], v[4:5], v[132:133]
	v_fma_f64 v[2:3], v[38:39], v[102:103], -v[2:3]
	ds_write_b128 v116, v[0:3] offset:21168
	global_load_dwordx4 v[0:3], v[8:9], off
	s_nop 0
	global_load_dwordx4 v[8:11], v[12:13], off
	s_nop 0
	;; [unrolled: 2-line block ×3, first 2 shown]
	global_load_dwordx4 v[16:19], v[20:21], off
	global_load_dwordx4 v[110:113], v[44:45], off offset:1824
	s_nop 0
	global_load_dwordx4 v[20:23], v[24:25], off
	global_load_dwordx4 v[100:103], v[50:51], off offset:2704
	s_nop 0
	;; [unrolled: 3-line block ×4, first 2 shown]
	global_load_dwordx4 v[32:35], v[36:37], off
	global_load_dwordx4 v[84:87], v[50:51], off offset:3712
	v_mad_u64_u32 v[50:51], s[6:7], s0, v54, v[46:47]
	v_add_u32_e32 v51, s2, v51
	s_movk_i32 s6, 0x6000
	global_load_dwordx4 v[36:39], v[40:41], off
	global_load_dwordx4 v[80:83], v[52:53], off offset:2960
	s_nop 0
	global_load_dwordx4 v[40:43], v[46:47], off
	global_load_dwordx4 v[76:79], v[44:45], off offset:3840
	v_add_co_u32_e32 v64, vcc, s6, v55
	global_load_dwordx4 v[44:47], v[50:51], off
	v_mad_u64_u32 v[50:51], s[6:7], s0, v57, v[50:51]
	v_addc_co_u32_e32 v65, vcc, 0, v56, vcc
	v_add_u32_e32 v51, s1, v51
	global_load_dwordx4 v[72:75], v[64:65], off offset:624
	global_load_dwordx4 v[56:59], v[50:51], off
	global_load_dwordx4 v[68:71], v[52:53], off offset:3968
	v_mad_u64_u32 v[50:51], s[6:7], s0, v54, v[50:51]
	v_add_u32_e32 v51, s2, v51
	global_load_dwordx4 v[60:63], v[50:51], off
	v_mad_u64_u32 v[50:51], s[0:1], s0, v54, v[50:51]
	v_add_u32_e32 v51, s2, v51
	global_load_dwordx4 v[52:55], v[50:51], off
	s_nop 0
	global_load_dwordx4 v[64:67], v[64:65], off offset:1632
	s_nop 0
	buffer_store_dword v130, off, s[36:39], 0 offset:472 ; 4-byte Folded Spill
	s_nop 0
	buffer_store_dword v131, off, s[36:39], 0 offset:476 ; 4-byte Folded Spill
	buffer_store_dword v132, off, s[36:39], 0 offset:480 ; 4-byte Folded Spill
	;; [unrolled: 1-line block ×3, first 2 shown]
	s_movk_i32 s0, 0x13b
	v_add_co_u32_e32 v123, vcc, s0, v174
	s_movk_i32 s0, 0x17a
	v_add_co_u32_e32 v120, vcc, s0, v174
	;; [unrolled: 2-line block ×4, first 2 shown]
	s_mov_b32 s0, 0xe8584caa
	v_add_co_u32_e32 v122, vcc, s3, v174
	s_mov_b32 s1, 0x3febb67a
	s_mov_b32 s3, 0xbfebb67a
	;; [unrolled: 1-line block ×3, first 2 shown]
	s_movk_i32 s6, 0xab
	v_fma_f64 v[50:51], v[6:7], v[130:131], -v[4:5]
	s_waitcnt vmcnt(27)
	v_mul_f64 v[4:5], v[2:3], v[136:137]
	ds_write_b128 v116, v[48:51] offset:4032
	v_fmac_f64_e32 v[4:5], v[0:1], v[134:135]
	v_mul_f64 v[0:1], v[0:1], v[136:137]
	buffer_store_dword v134, off, s[36:39], 0 offset:456 ; 4-byte Folded Spill
	s_nop 0
	buffer_store_dword v135, off, s[36:39], 0 offset:460 ; 4-byte Folded Spill
	buffer_store_dword v136, off, s[36:39], 0 offset:464 ; 4-byte Folded Spill
	;; [unrolled: 1-line block ×3, first 2 shown]
	v_fma_f64 v[6:7], v[2:3], v[134:135], -v[0:1]
	s_waitcnt vmcnt(30)
	v_mul_f64 v[0:1], v[10:11], v[98:99]
	ds_write_b128 v116, v[4:7] offset:13104
	v_fmac_f64_e32 v[0:1], v[8:9], v[96:97]
	v_mul_f64 v[2:3], v[8:9], v[98:99]
	buffer_store_dword v96, off, s[36:39], 0 offset:440 ; 4-byte Folded Spill
	s_nop 0
	buffer_store_dword v97, off, s[36:39], 0 offset:444 ; 4-byte Folded Spill
	buffer_store_dword v98, off, s[36:39], 0 offset:448 ; 4-byte Folded Spill
	buffer_store_dword v99, off, s[36:39], 0 offset:452 ; 4-byte Folded Spill
	v_fma_f64 v[2:3], v[10:11], v[96:97], -v[2:3]
	ds_write_b128 v116, v[0:3] offset:22176
	s_waitcnt vmcnt(33)
	v_mul_f64 v[0:1], v[14:15], v[128:129]
	v_fmac_f64_e32 v[0:1], v[12:13], v[126:127]
	v_mul_f64 v[2:3], v[12:13], v[128:129]
	buffer_store_dword v126, off, s[36:39], 0 offset:424 ; 4-byte Folded Spill
	s_nop 0
	buffer_store_dword v127, off, s[36:39], 0 offset:428 ; 4-byte Folded Spill
	buffer_store_dword v128, off, s[36:39], 0 offset:432 ; 4-byte Folded Spill
	buffer_store_dword v129, off, s[36:39], 0 offset:436 ; 4-byte Folded Spill
	v_fma_f64 v[2:3], v[14:15], v[126:127], -v[2:3]
	ds_write_b128 v116, v[0:3] offset:5040
	s_waitcnt vmcnt(35)
	v_mul_f64 v[0:1], v[18:19], v[112:113]
	;; [unrolled: 11-line block ×12, first 2 shown]
	v_fmac_f64_e32 v[0:1], v[52:53], v[64:65]
	v_mul_f64 v[2:3], v[52:53], v[66:67]
	buffer_store_dword v64, off, s[36:39], 0 offset:32 ; 4-byte Folded Spill
	s_nop 0
	buffer_store_dword v65, off, s[36:39], 0 offset:36 ; 4-byte Folded Spill
	buffer_store_dword v66, off, s[36:39], 0 offset:40 ; 4-byte Folded Spill
	;; [unrolled: 1-line block ×3, first 2 shown]
	v_fma_f64 v[2:3], v[54:55], v[64:65], -v[2:3]
	ds_write_b128 v116, v[0:3] offset:26208
	s_waitcnt lgkmcnt(0)
	; wave barrier
	s_waitcnt lgkmcnt(0)
	ds_read_b128 v[0:3], v116
	ds_read_b128 v[4:7], v116 offset:1008
	ds_read_b128 v[100:103], v116 offset:18144
	;; [unrolled: 1-line block ×26, first 2 shown]
	s_waitcnt lgkmcnt(4)
	v_add_f64 v[46:47], v[108:109], v[100:101]
	v_add_f64 v[44:45], v[0:1], v[108:109]
	v_fmac_f64_e32 v[0:1], -0.5, v[46:47]
	v_add_f64 v[46:47], v[110:111], -v[102:103]
	v_fma_f64 v[60:61], s[0:1], v[46:47], v[0:1]
	v_fmac_f64_e32 v[0:1], s[2:3], v[46:47]
	v_add_f64 v[46:47], v[2:3], v[110:111]
	v_add_f64 v[62:63], v[110:111], v[102:103]
	;; [unrolled: 1-line block ×4, first 2 shown]
	v_fmac_f64_e32 v[2:3], -0.5, v[62:63]
	v_add_f64 v[100:101], v[108:109], -v[100:101]
	v_add_f64 v[102:103], v[88:89], v[84:85]
	v_fma_f64 v[62:63], s[2:3], v[100:101], v[2:3]
	v_fmac_f64_e32 v[2:3], s[0:1], v[100:101]
	v_add_f64 v[100:101], v[4:5], v[88:89]
	v_fmac_f64_e32 v[4:5], -0.5, v[102:103]
	v_add_f64 v[102:103], v[90:91], -v[86:87]
	v_fma_f64 v[108:109], s[0:1], v[102:103], v[4:5]
	v_fmac_f64_e32 v[4:5], s[2:3], v[102:103]
	v_add_f64 v[102:103], v[6:7], v[90:91]
	v_add_f64 v[102:103], v[102:103], v[86:87]
	;; [unrolled: 1-line block ×4, first 2 shown]
	v_fmac_f64_e32 v[6:7], -0.5, v[86:87]
	v_add_f64 v[84:85], v[88:89], -v[84:85]
	v_add_f64 v[86:87], v[52:53], v[112:113]
	v_fma_f64 v[110:111], s[2:3], v[84:85], v[6:7]
	v_fmac_f64_e32 v[6:7], s[0:1], v[84:85]
	v_add_f64 v[84:85], v[8:9], v[52:53]
	v_fmac_f64_e32 v[8:9], -0.5, v[86:87]
	v_add_f64 v[86:87], v[54:55], -v[114:115]
	v_fma_f64 v[88:89], s[0:1], v[86:87], v[8:9]
	v_fmac_f64_e32 v[8:9], s[2:3], v[86:87]
	v_add_f64 v[86:87], v[10:11], v[54:55]
	v_add_f64 v[54:55], v[54:55], v[114:115]
	v_fmac_f64_e32 v[10:11], -0.5, v[54:55]
	v_add_f64 v[52:53], v[52:53], -v[112:113]
	v_add_f64 v[54:55], v[80:81], v[76:77]
	v_fma_f64 v[90:91], s[2:3], v[52:53], v[10:11]
	v_fmac_f64_e32 v[10:11], s[0:1], v[52:53]
	v_add_f64 v[52:53], v[12:13], v[80:81]
	v_fmac_f64_e32 v[12:13], -0.5, v[54:55]
	v_add_f64 v[54:55], v[82:83], -v[78:79]
	v_add_f64 v[84:85], v[84:85], v[112:113]
	v_fma_f64 v[112:113], s[0:1], v[54:55], v[12:13]
	v_fmac_f64_e32 v[12:13], s[2:3], v[54:55]
	v_add_f64 v[54:55], v[14:15], v[82:83]
	v_add_f64 v[54:55], v[54:55], v[78:79]
	;; [unrolled: 1-line block ×4, first 2 shown]
	v_fmac_f64_e32 v[14:15], -0.5, v[78:79]
	v_add_f64 v[76:77], v[80:81], -v[76:77]
	v_add_f64 v[78:79], v[48:49], v[104:105]
	v_add_f64 v[86:87], v[86:87], v[114:115]
	v_fma_f64 v[114:115], s[2:3], v[76:77], v[14:15]
	v_fmac_f64_e32 v[14:15], s[0:1], v[76:77]
	v_add_f64 v[76:77], v[16:17], v[48:49]
	v_fmac_f64_e32 v[16:17], -0.5, v[78:79]
	v_add_f64 v[78:79], v[50:51], -v[106:107]
	v_fma_f64 v[80:81], s[0:1], v[78:79], v[16:17]
	v_fmac_f64_e32 v[16:17], s[2:3], v[78:79]
	v_add_f64 v[78:79], v[18:19], v[50:51]
	v_add_f64 v[50:51], v[50:51], v[106:107]
	v_fmac_f64_e32 v[18:19], -0.5, v[50:51]
	v_add_f64 v[48:49], v[48:49], -v[104:105]
	v_add_f64 v[50:51], v[72:73], v[68:69]
	v_fma_f64 v[82:83], s[2:3], v[48:49], v[18:19]
	v_fmac_f64_e32 v[18:19], s[0:1], v[48:49]
	v_add_f64 v[48:49], v[20:21], v[72:73]
	v_fmac_f64_e32 v[20:21], -0.5, v[50:51]
	v_add_f64 v[50:51], v[74:75], -v[70:71]
	v_add_f64 v[76:77], v[76:77], v[104:105]
	v_fma_f64 v[104:105], s[0:1], v[50:51], v[20:21]
	v_fmac_f64_e32 v[20:21], s[2:3], v[50:51]
	v_add_f64 v[50:51], v[22:23], v[74:75]
	v_add_f64 v[50:51], v[50:51], v[70:71]
	;; [unrolled: 1-line block ×4, first 2 shown]
	v_fmac_f64_e32 v[22:23], -0.5, v[70:71]
	v_add_f64 v[68:69], v[72:73], -v[68:69]
	v_add_f64 v[70:71], v[40:41], v[96:97]
	v_add_f64 v[78:79], v[78:79], v[106:107]
	v_fma_f64 v[106:107], s[2:3], v[68:69], v[22:23]
	v_fmac_f64_e32 v[22:23], s[0:1], v[68:69]
	v_add_f64 v[68:69], v[24:25], v[40:41]
	v_fmac_f64_e32 v[24:25], -0.5, v[70:71]
	v_add_f64 v[70:71], v[42:43], -v[98:99]
	v_fma_f64 v[72:73], s[0:1], v[70:71], v[24:25]
	v_fmac_f64_e32 v[24:25], s[2:3], v[70:71]
	v_add_f64 v[70:71], v[26:27], v[42:43]
	v_add_f64 v[42:43], v[42:43], v[98:99]
	v_fmac_f64_e32 v[26:27], -0.5, v[42:43]
	v_add_f64 v[40:41], v[40:41], -v[96:97]
	s_waitcnt lgkmcnt(2)
	v_add_f64 v[42:43], v[92:93], v[64:65]
	v_fma_f64 v[74:75], s[2:3], v[40:41], v[26:27]
	v_fmac_f64_e32 v[26:27], s[0:1], v[40:41]
	v_add_f64 v[40:41], v[28:29], v[92:93]
	v_fmac_f64_e32 v[28:29], -0.5, v[42:43]
	v_add_f64 v[42:43], v[94:95], -v[66:67]
	v_add_f64 v[68:69], v[68:69], v[96:97]
	v_fma_f64 v[96:97], s[0:1], v[42:43], v[28:29]
	v_fmac_f64_e32 v[28:29], s[2:3], v[42:43]
	v_add_f64 v[42:43], v[30:31], v[94:95]
	v_add_f64 v[42:43], v[42:43], v[66:67]
	;; [unrolled: 1-line block ×4, first 2 shown]
	v_fmac_f64_e32 v[30:31], -0.5, v[66:67]
	v_add_f64 v[64:65], v[92:93], -v[64:65]
	s_waitcnt lgkmcnt(0)
	v_add_f64 v[66:67], v[36:37], v[56:57]
	v_add_f64 v[70:71], v[70:71], v[98:99]
	v_fma_f64 v[98:99], s[2:3], v[64:65], v[30:31]
	v_fmac_f64_e32 v[30:31], s[0:1], v[64:65]
	v_add_f64 v[64:65], v[32:33], v[36:37]
	v_fmac_f64_e32 v[32:33], -0.5, v[66:67]
	v_add_f64 v[66:67], v[38:39], -v[58:59]
	v_fma_f64 v[92:93], s[0:1], v[66:67], v[32:33]
	v_fmac_f64_e32 v[32:33], s[2:3], v[66:67]
	v_add_f64 v[66:67], v[34:35], v[38:39]
	v_add_f64 v[38:39], v[38:39], v[58:59]
	v_fmac_f64_e32 v[34:35], -0.5, v[38:39]
	v_add_f64 v[36:37], v[36:37], -v[56:57]
	v_fma_f64 v[94:95], s[2:3], v[36:37], v[34:35]
	v_fmac_f64_e32 v[34:35], s[0:1], v[36:37]
	v_mul_lo_u16_e32 v36, 3, v174
	v_lshlrev_b32_e32 v36, 4, v36
	s_waitcnt lgkmcnt(0)
	; wave barrier
	ds_write_b128 v36, v[44:47]
	ds_write_b128 v36, v[60:63] offset:16
	ds_write_b128 v36, v[0:3] offset:32
	v_mul_u32_u24_e32 v0, 3, v124
	v_lshlrev_b32_e32 v0, 4, v0
	buffer_store_dword v36, off, s[36:39], 0 offset:756 ; 4-byte Folded Spill
	ds_write_b128 v0, v[100:103]
	ds_write_b128 v0, v[108:111] offset:16
	buffer_store_dword v0, off, s[36:39], 0 offset:748 ; 4-byte Folded Spill
	ds_write_b128 v0, v[4:7] offset:32
	v_mul_u32_u24_e32 v0, 3, v121
	v_lshlrev_b32_e32 v0, 4, v0
	ds_write_b128 v0, v[84:87]
	ds_write_b128 v0, v[88:91] offset:16
	buffer_store_dword v0, off, s[36:39], 0 offset:740 ; 4-byte Folded Spill
	ds_write_b128 v0, v[8:11] offset:32
	v_mul_u32_u24_e32 v0, 3, v118
	v_lshlrev_b32_e32 v0, 4, v0
	ds_write_b128 v0, v[52:55]
	ds_write_b128 v0, v[112:115] offset:16
	buffer_store_dword v0, off, s[36:39], 0 offset:732 ; 4-byte Folded Spill
	ds_write_b128 v0, v[12:15] offset:32
	v_mul_u32_u24_e32 v0, 3, v122
	v_lshlrev_b32_e32 v0, 4, v0
	ds_write_b128 v0, v[76:79]
	ds_write_b128 v0, v[80:83] offset:16
	buffer_store_dword v0, off, s[36:39], 0 offset:728 ; 4-byte Folded Spill
	ds_write_b128 v0, v[16:19] offset:32
	v_mul_u32_u24_e32 v0, 3, v123
	v_lshlrev_b32_e32 v0, 4, v0
	ds_write_b128 v0, v[48:51]
	ds_write_b128 v0, v[104:107] offset:16
	buffer_store_dword v0, off, s[36:39], 0 offset:644 ; 4-byte Folded Spill
	ds_write_b128 v0, v[20:23] offset:32
	v_mul_u32_u24_e32 v0, 3, v120
	v_lshlrev_b32_e32 v0, 4, v0
	ds_write_b128 v0, v[68:71]
	ds_write_b128 v0, v[72:75] offset:16
	buffer_store_dword v0, off, s[36:39], 0 offset:640 ; 4-byte Folded Spill
	ds_write_b128 v0, v[24:27] offset:32
	v_mul_u32_u24_e32 v0, 3, v119
	v_lshlrev_b32_e32 v0, 4, v0
	ds_write_b128 v0, v[40:43]
	ds_write_b128 v0, v[96:99] offset:16
	buffer_store_dword v0, off, s[36:39], 0 offset:636 ; 4-byte Folded Spill
	ds_write_b128 v0, v[28:31] offset:32
	v_mul_u32_u24_e32 v0, 3, v117
	v_add_f64 v[64:65], v[64:65], v[56:57]
	v_add_f64 v[66:67], v[66:67], v[58:59]
	v_lshlrev_b32_e32 v0, 4, v0
	ds_write_b128 v0, v[64:67]
	ds_write_b128 v0, v[92:95] offset:16
	buffer_store_dword v0, off, s[36:39], 0 offset:632 ; 4-byte Folded Spill
	ds_write_b128 v0, v[32:35] offset:32
	v_mul_lo_u16_sdwa v0, v174, s6 dst_sel:DWORD dst_unused:UNUSED_PAD src0_sel:BYTE_0 src1_sel:DWORD
	v_lshrrev_b16_e32 v8, 9, v0
	v_mul_lo_u16_e32 v0, 3, v8
	v_sub_u16_e32 v0, v174, v0
	v_and_b32_e32 v9, 0xff, v0
	v_lshlrev_b32_e32 v0, 5, v9
	s_waitcnt lgkmcnt(0)
	; wave barrier
	s_waitcnt lgkmcnt(0)
	global_load_dwordx4 v[50:53], v0, s[14:15] offset:16
	global_load_dwordx4 v[54:57], v0, s[14:15]
	v_mul_lo_u16_sdwa v0, v124, s6 dst_sel:DWORD dst_unused:UNUSED_PAD src0_sel:BYTE_0 src1_sel:DWORD
	v_lshrrev_b16_e32 v75, 9, v0
	v_mul_lo_u16_e32 v0, 3, v75
	v_sub_u16_e32 v0, v124, v0
	v_and_b32_e32 v101, 0xff, v0
	v_lshlrev_b32_e32 v0, 5, v101
	global_load_dwordx4 v[58:61], v0, s[14:15] offset:16
	global_load_dwordx4 v[66:69], v0, s[14:15]
	v_mul_lo_u16_sdwa v0, v121, s6 dst_sel:DWORD dst_unused:UNUSED_PAD src0_sel:BYTE_0 src1_sel:DWORD
	v_lshrrev_b16_e32 v102, 9, v0
	v_mul_lo_u16_e32 v0, 3, v102
	v_sub_u16_e32 v0, v121, v0
	v_and_b32_e32 v104, 0xff, v0
	v_lshlrev_b32_e32 v0, 5, v104
	;; [unrolled: 8-line block ×3, first 2 shown]
	s_mov_b32 s6, 0xaaab
	global_load_dwordx4 v[134:137], v0, s[14:15] offset:16
	global_load_dwordx4 v[138:141], v0, s[14:15]
	v_mul_u32_u24_sdwa v0, v122, s6 dst_sel:DWORD dst_unused:UNUSED_PAD src0_sel:WORD_0 src1_sel:DWORD
	v_lshrrev_b32_e32 v108, 17, v0
	v_mul_lo_u16_e32 v0, 3, v108
	v_sub_u16_e32 v109, v122, v0
	v_lshlrev_b16_e32 v0, 1, v109
	v_lshlrev_b32_e32 v0, 4, v0
	global_load_dwordx4 v[146:149], v0, s[14:15]
	global_load_dwordx4 v[142:145], v0, s[14:15] offset:16
	v_mul_u32_u24_sdwa v0, v123, s6 dst_sel:DWORD dst_unused:UNUSED_PAD src0_sel:WORD_0 src1_sel:DWORD
	v_lshrrev_b32_e32 v110, 17, v0
	v_mul_lo_u16_e32 v0, 3, v110
	v_sub_u16_e32 v111, v123, v0
	v_lshlrev_b16_e32 v0, 1, v111
	v_lshlrev_b32_e32 v0, 4, v0
	global_load_dwordx4 v[154:157], v0, s[14:15]
	global_load_dwordx4 v[150:153], v0, s[14:15] offset:16
	ds_read_b128 v[4:7], v116 offset:9072
	ds_read_b128 v[10:13], v116 offset:18144
	;; [unrolled: 1-line block ×14, first 2 shown]
	v_mul_u32_u24_e32 v8, 9, v8
	s_waitcnt vmcnt(11) lgkmcnt(12)
	v_mul_f64 v[98:99], v[10:11], v[52:53]
	s_waitcnt vmcnt(10)
	v_mul_f64 v[38:39], v[6:7], v[56:57]
	v_fma_f64 v[92:93], v[4:5], v[54:55], -v[38:39]
	v_mul_f64 v[94:95], v[4:5], v[56:57]
	v_mul_f64 v[4:5], v[12:13], v[52:53]
	v_fma_f64 v[96:97], v[10:11], v[50:51], -v[4:5]
	v_accvgpr_write_b32 a195, v53
	v_accvgpr_write_b32 a207, v57
	s_waitcnt vmcnt(8) lgkmcnt(10)
	v_mul_f64 v[4:5], v[20:21], v[68:69]
	v_fma_f64 v[84:85], v[18:19], v[66:67], -v[4:5]
	v_mul_f64 v[4:5], v[16:17], v[60:61]
	v_mul_f64 v[86:87], v[18:19], v[68:69]
	v_accvgpr_write_b32 a223, v69
	v_fma_f64 v[88:89], v[14:15], v[58:59], -v[4:5]
	v_accvgpr_write_b32 a222, v68
	s_waitcnt vmcnt(6) lgkmcnt(9)
	v_mul_f64 v[4:5], v[24:25], v[78:79]
	v_accvgpr_write_b32 a221, v67
	v_accvgpr_write_b32 a220, v66
	v_fmac_f64_e32 v[86:87], v[20:21], v[66:67]
	v_fma_f64 v[66:67], v[22:23], v[76:77], -v[4:5]
	v_mul_f64 v[70:71], v[22:23], v[78:79]
	v_accvgpr_write_b32 a249, v79
	s_waitcnt lgkmcnt(8)
	v_mul_f64 v[4:5], v[28:29], v[132:133]
	v_accvgpr_write_b32 a248, v78
	v_accvgpr_write_b32 a247, v77
	;; [unrolled: 1-line block ×3, first 2 shown]
	v_fmac_f64_e32 v[70:71], v[24:25], v[76:77]
	v_fma_f64 v[76:77], v[26:27], v[130:131], -v[4:5]
	s_waitcnt vmcnt(4) lgkmcnt(6)
	v_mul_f64 v[4:5], v[36:37], v[140:141]
	v_accvgpr_write_b32 a194, v52
	v_accvgpr_write_b32 a193, v51
	;; [unrolled: 1-line block ×3, first 2 shown]
	v_fmac_f64_e32 v[98:99], v[12:13], v[50:51]
	v_fma_f64 v[50:51], v[34:35], v[138:139], -v[4:5]
	v_mul_f64 v[4:5], v[32:33], v[136:137]
	v_accvgpr_write_b32 a206, v56
	v_accvgpr_write_b32 a205, v55
	;; [unrolled: 1-line block ×3, first 2 shown]
	v_fmac_f64_e32 v[94:95], v[6:7], v[54:55]
	v_mul_f64 v[54:55], v[34:35], v[140:141]
	v_fma_f64 v[56:57], v[30:31], v[134:135], -v[4:5]
	s_waitcnt vmcnt(3) lgkmcnt(5)
	v_mul_f64 v[4:5], v[42:43], v[148:149]
	v_fmac_f64_e32 v[54:55], v[36:37], v[138:139]
	v_fma_f64 v[36:37], v[40:41], v[146:147], -v[4:5]
	v_mul_f64 v[40:41], v[40:41], v[148:149]
	s_waitcnt vmcnt(2) lgkmcnt(4)
	v_mul_f64 v[4:5], v[48:49], v[144:145]
	v_fmac_f64_e32 v[40:41], v[42:43], v[146:147]
	v_fma_f64 v[42:43], v[46:47], v[142:143], -v[4:5]
	s_waitcnt vmcnt(1) lgkmcnt(2)
	v_mul_f64 v[4:5], v[114:115], v[156:157]
	v_accvgpr_write_b32 a215, v61
	v_fma_f64 v[24:25], v[112:113], v[154:155], -v[4:5]
	s_waitcnt vmcnt(0)
	v_mul_f64 v[4:5], v[64:65], v[152:153]
	v_mul_f64 v[90:91], v[14:15], v[60:61]
	v_accvgpr_write_b32 a214, v60
	v_accvgpr_write_b32 a213, v59
	;; [unrolled: 1-line block ×3, first 2 shown]
	v_mul_f64 v[60:61], v[30:31], v[136:137]
	v_fma_f64 v[30:31], v[62:63], v[150:151], -v[4:5]
	v_mul_u32_u24_sdwa v4, v120, s6 dst_sel:DWORD dst_unused:UNUSED_PAD src0_sel:WORD_0 src1_sel:DWORD
	v_lshrrev_b32_e32 v74, 17, v4
	v_mul_lo_u16_e32 v4, 3, v74
	v_sub_u16_e32 v100, v120, v4
	v_lshlrev_b16_e32 v4, 1, v100
	v_lshlrev_b32_e32 v6, 4, v4
	global_load_dwordx4 v[10:13], v6, s[14:15]
	v_fmac_f64_e32 v[90:91], v[16:17], v[58:59]
	global_load_dwordx4 v[16:19], v6, s[14:15] offset:16
	v_mul_f64 v[80:81], v[26:27], v[132:133]
	v_fmac_f64_e32 v[60:61], v[32:33], v[134:135]
	v_fmac_f64_e32 v[80:81], v[28:29], v[130:131]
	v_mul_f64 v[34:35], v[62:63], v[152:153]
	v_fmac_f64_e32 v[34:35], v[64:65], v[150:151]
	v_mul_f64 v[46:47], v[46:47], v[144:145]
	v_fmac_f64_e32 v[46:47], v[48:49], v[142:143]
	v_accvgpr_write_b32 a0, v138
	v_accvgpr_write_b32 a235, v133
	;; [unrolled: 1-line block ×6, first 2 shown]
	v_mul_f64 v[26:27], v[112:113], v[156:157]
	v_add_lshl_u32 v140, v8, v9, 4
	v_accvgpr_write_b32 a234, v132
	v_accvgpr_write_b32 a233, v131
	;; [unrolled: 1-line block ×6, first 2 shown]
	v_fmac_f64_e32 v[26:27], v[114:115], v[154:155]
	v_add_f64 v[138:139], v[94:95], -v[98:99]
	v_accvgpr_write_b32 a40, v142
	v_accvgpr_write_b32 a41, v143
	;; [unrolled: 1-line block ×16, first 2 shown]
	s_waitcnt vmcnt(1) lgkmcnt(1)
	v_mul_f64 v[4:5], v[128:129], v[12:13]
	v_mul_f64 v[32:33], v[126:127], v[12:13]
	v_accvgpr_write_b32 a73, v13
	v_fma_f64 v[28:29], v[126:127], v[10:11], -v[4:5]
	v_accvgpr_write_b32 a72, v12
	v_accvgpr_write_b32 a71, v11
	;; [unrolled: 1-line block ×3, first 2 shown]
	v_fmac_f64_e32 v[32:33], v[128:129], v[10:11]
	ds_read_b128 v[4:7], v116 offset:24192
	ds_read_b128 v[10:13], v116 offset:25200
	s_waitcnt vmcnt(0)
	v_accvgpr_write_b32 a77, v19
	v_accvgpr_write_b32 a76, v18
	;; [unrolled: 1-line block ×3, first 2 shown]
	s_waitcnt lgkmcnt(1)
	v_mul_f64 v[14:15], v[6:7], v[18:19]
	v_fma_f64 v[38:39], v[4:5], v[16:17], -v[14:15]
	v_mul_f64 v[44:45], v[4:5], v[18:19]
	v_mul_u32_u24_sdwa v4, v119, s6 dst_sel:DWORD dst_unused:UNUSED_PAD src0_sel:WORD_0 src1_sel:DWORD
	v_lshrrev_b32_e32 v72, 17, v4
	v_mul_lo_u16_e32 v4, 3, v72
	v_sub_u16_e32 v73, v119, v4
	v_lshlrev_b16_e32 v4, 1, v73
	v_lshlrev_b32_e32 v20, 4, v4
	global_load_dwordx4 v[62:65], v20, s[14:15]
	v_accvgpr_write_b32 a74, v16
	v_fmac_f64_e32 v[44:45], v[6:7], v[16:17]
	ds_read_b128 v[4:7], v116 offset:16128
	ds_read_b128 v[14:17], v116 offset:17136
	s_waitcnt vmcnt(0) lgkmcnt(1)
	v_mul_f64 v[18:19], v[6:7], v[64:65]
	v_fma_f64 v[48:49], v[4:5], v[62:63], -v[18:19]
	global_load_dwordx4 v[18:21], v20, s[14:15] offset:16
	v_mul_f64 v[52:53], v[4:5], v[64:65]
	v_accvgpr_write_b32 a81, v65
	v_accvgpr_write_b32 a80, v64
	;; [unrolled: 1-line block ×4, first 2 shown]
	v_fmac_f64_e32 v[52:53], v[6:7], v[62:63]
	s_waitcnt vmcnt(0)
	v_mul_f64 v[4:5], v[12:13], v[20:21]
	v_fma_f64 v[58:59], v[10:11], v[18:19], -v[4:5]
	v_mul_u32_u24_sdwa v4, v117, s6 dst_sel:DWORD dst_unused:UNUSED_PAD src0_sel:WORD_0 src1_sel:DWORD
	v_lshrrev_b32_e32 v103, 17, v4
	v_mul_lo_u16_e32 v4, 3, v103
	v_sub_u16_e32 v106, v117, v4
	v_lshlrev_b16_e32 v4, 1, v106
	v_mul_f64 v[62:63], v[10:11], v[20:21]
	v_lshlrev_b32_e32 v6, 4, v4
	v_fmac_f64_e32 v[62:63], v[12:13], v[18:19]
	global_load_dwordx4 v[10:13], v6, s[14:15]
	v_accvgpr_write_b32 a95, v21
	v_accvgpr_write_b32 a94, v20
	;; [unrolled: 1-line block ×4, first 2 shown]
	s_mov_b32 s6, 0xe38f
	s_waitcnt vmcnt(0) lgkmcnt(0)
	v_mul_f64 v[4:5], v[16:17], v[12:13]
	v_accvgpr_write_b32 a99, v13
	v_fma_f64 v[64:65], v[14:15], v[10:11], -v[4:5]
	v_mul_f64 v[68:69], v[14:15], v[12:13]
	v_accvgpr_write_b32 a98, v12
	v_accvgpr_write_b32 a97, v11
	v_accvgpr_write_b32 a96, v10
	global_load_dwordx4 v[12:15], v6, s[14:15] offset:16
	ds_read_b128 v[4:7], v116 offset:26208
	v_fmac_f64_e32 v[68:69], v[16:17], v[10:11]
	s_waitcnt vmcnt(0) lgkmcnt(0)
	v_mul_f64 v[10:11], v[6:7], v[14:15]
	v_mul_f64 v[82:83], v[4:5], v[14:15]
	v_fma_f64 v[78:79], v[4:5], v[12:13], -v[10:11]
	v_fmac_f64_e32 v[82:83], v[6:7], v[12:13]
	ds_read_b128 v[16:19], v116
	ds_read_b128 v[4:7], v116 offset:1008
	v_accvgpr_write_b32 a89, v15
	v_accvgpr_write_b32 a88, v14
	;; [unrolled: 1-line block ×3, first 2 shown]
	s_waitcnt lgkmcnt(1)
	v_add_f64 v[10:11], v[16:17], v[92:93]
	v_add_f64 v[20:21], v[10:11], v[96:97]
	;; [unrolled: 1-line block ×4, first 2 shown]
	v_accvgpr_write_b32 a86, v12
	ds_read_b128 v[112:115], v116 offset:2016
	ds_read_b128 v[126:129], v116 offset:3024
	;; [unrolled: 1-line block ×6, first 2 shown]
	s_waitcnt lgkmcnt(0)
	; wave barrier
	s_waitcnt lgkmcnt(0)
	ds_write_b128 v140, v[20:23]
	v_add_f64 v[20:21], v[92:93], v[96:97]
	v_fmac_f64_e32 v[16:17], -0.5, v[20:21]
	v_add_f64 v[20:21], v[94:95], v[98:99]
	v_fmac_f64_e32 v[18:19], -0.5, v[20:21]
	v_add_f64 v[92:93], v[92:93], -v[96:97]
	v_fma_f64 v[20:21], s[0:1], v[138:139], v[16:17]
	v_fma_f64 v[22:23], s[2:3], v[92:93], v[18:19]
	v_fmac_f64_e32 v[16:17], s[2:3], v[138:139]
	v_fmac_f64_e32 v[18:19], s[0:1], v[92:93]
	ds_write_b128 v140, v[20:23] offset:48
	ds_write_b128 v140, v[16:19] offset:96
	v_add_f64 v[16:17], v[4:5], v[84:85]
	v_add_f64 v[18:19], v[6:7], v[86:87]
	v_mul_u32_u24_e32 v20, 9, v75
	v_add_f64 v[16:17], v[16:17], v[88:89]
	v_add_f64 v[18:19], v[18:19], v[90:91]
	v_add_lshl_u32 v75, v20, v101, 4
	ds_write_b128 v75, v[16:19]
	v_add_f64 v[16:17], v[84:85], v[88:89]
	v_fmac_f64_e32 v[4:5], -0.5, v[16:17]
	v_add_f64 v[16:17], v[86:87], v[90:91]
	v_add_f64 v[20:21], v[86:87], -v[90:91]
	v_fmac_f64_e32 v[6:7], -0.5, v[16:17]
	v_add_f64 v[22:23], v[84:85], -v[88:89]
	v_fma_f64 v[16:17], s[0:1], v[20:21], v[4:5]
	v_fma_f64 v[18:19], s[2:3], v[22:23], v[6:7]
	v_fmac_f64_e32 v[4:5], s[2:3], v[20:21]
	v_fmac_f64_e32 v[6:7], s[0:1], v[22:23]
	ds_write_b128 v75, v[16:19] offset:48
	ds_write_b128 v75, v[4:7] offset:96
	v_add_f64 v[4:5], v[112:113], v[66:67]
	v_add_f64 v[6:7], v[114:115], v[70:71]
	v_mul_u32_u24_e32 v16, 9, v102
	v_add_f64 v[4:5], v[4:5], v[76:77]
	v_add_f64 v[6:7], v[6:7], v[80:81]
	v_add_lshl_u32 v20, v16, v104, 4
	ds_write_b128 v20, v[4:7]
	v_add_f64 v[4:5], v[66:67], v[76:77]
	v_fmac_f64_e32 v[112:113], -0.5, v[4:5]
	v_add_f64 v[4:5], v[70:71], v[80:81]
	v_add_f64 v[16:17], v[70:71], -v[80:81]
	v_fmac_f64_e32 v[114:115], -0.5, v[4:5]
	v_add_f64 v[18:19], v[66:67], -v[76:77]
	v_fma_f64 v[4:5], s[0:1], v[16:17], v[112:113]
	v_fma_f64 v[6:7], s[2:3], v[18:19], v[114:115]
	ds_write_b128 v20, v[4:7] offset:48
	v_fmac_f64_e32 v[112:113], s[2:3], v[16:17]
	v_fmac_f64_e32 v[114:115], s[0:1], v[18:19]
	v_add_f64 v[4:5], v[126:127], v[50:51]
	v_add_f64 v[6:7], v[128:129], v[54:55]
	v_mul_u32_u24_e32 v16, 9, v105
	buffer_store_dword v20, off, s[36:39], 0 offset:240 ; 4-byte Folded Spill
	ds_write_b128 v20, v[112:115] offset:96
	v_add_f64 v[4:5], v[4:5], v[56:57]
	v_add_f64 v[6:7], v[6:7], v[60:61]
	v_add_lshl_u32 v20, v16, v107, 4
	ds_write_b128 v20, v[4:7]
	v_add_f64 v[4:5], v[50:51], v[56:57]
	v_fmac_f64_e32 v[126:127], -0.5, v[4:5]
	v_add_f64 v[4:5], v[54:55], v[60:61]
	v_add_f64 v[16:17], v[54:55], -v[60:61]
	v_fmac_f64_e32 v[128:129], -0.5, v[4:5]
	v_add_f64 v[18:19], v[50:51], -v[56:57]
	v_fma_f64 v[4:5], s[0:1], v[16:17], v[126:127]
	v_fma_f64 v[6:7], s[2:3], v[18:19], v[128:129]
	ds_write_b128 v20, v[4:7] offset:48
	v_fmac_f64_e32 v[126:127], s[2:3], v[16:17]
	v_fmac_f64_e32 v[128:129], s[0:1], v[18:19]
	v_add_f64 v[4:5], v[130:131], v[36:37]
	v_add_f64 v[6:7], v[132:133], v[40:41]
	v_mad_legacy_u16 v16, v108, 9, v109
	buffer_store_dword v20, off, s[36:39], 0 offset:220 ; 4-byte Folded Spill
	ds_write_b128 v20, v[126:129] offset:96
	v_add_f64 v[4:5], v[4:5], v[42:43]
	v_add_f64 v[6:7], v[6:7], v[46:47]
	v_lshlrev_b32_e32 v20, 4, v16
	ds_write_b128 v20, v[4:7]
	v_add_f64 v[4:5], v[36:37], v[42:43]
	v_fmac_f64_e32 v[130:131], -0.5, v[4:5]
	v_add_f64 v[4:5], v[40:41], v[46:47]
	v_add_f64 v[16:17], v[40:41], -v[46:47]
	v_fmac_f64_e32 v[132:133], -0.5, v[4:5]
	v_add_f64 v[18:19], v[36:37], -v[42:43]
	v_fma_f64 v[4:5], s[0:1], v[16:17], v[130:131]
	v_fma_f64 v[6:7], s[2:3], v[18:19], v[132:133]
	ds_write_b128 v20, v[4:7] offset:48
	v_fmac_f64_e32 v[130:131], s[2:3], v[16:17]
	v_fmac_f64_e32 v[132:133], s[0:1], v[18:19]
	v_add_f64 v[4:5], v[134:135], v[24:25]
	v_add_f64 v[6:7], v[136:137], v[26:27]
	v_mad_legacy_u16 v16, v110, 9, v111
	buffer_store_dword v20, off, s[36:39], 0 offset:200 ; 4-byte Folded Spill
	ds_write_b128 v20, v[130:133] offset:96
	v_add_f64 v[4:5], v[4:5], v[30:31]
	v_add_f64 v[6:7], v[6:7], v[34:35]
	v_lshlrev_b32_e32 v20, 4, v16
	ds_write_b128 v20, v[4:7]
	v_add_f64 v[4:5], v[24:25], v[30:31]
	v_fmac_f64_e32 v[134:135], -0.5, v[4:5]
	v_add_f64 v[4:5], v[26:27], v[34:35]
	v_add_f64 v[16:17], v[26:27], -v[34:35]
	v_fmac_f64_e32 v[136:137], -0.5, v[4:5]
	v_add_f64 v[18:19], v[24:25], -v[30:31]
	v_fma_f64 v[4:5], s[0:1], v[16:17], v[134:135]
	v_fma_f64 v[6:7], s[2:3], v[18:19], v[136:137]
	ds_write_b128 v20, v[4:7] offset:48
	v_add_f64 v[4:5], v[28:29], v[38:39]
	v_fmac_f64_e32 v[134:135], s[2:3], v[16:17]
	v_add_f64 v[6:7], v[12:13], v[28:29]
	v_fmac_f64_e32 v[12:13], -0.5, v[4:5]
	v_add_f64 v[16:17], v[32:33], -v[44:45]
	v_fma_f64 v[4:5], s[0:1], v[16:17], v[12:13]
	v_fmac_f64_e32 v[12:13], s[2:3], v[16:17]
	v_add_f64 v[16:17], v[6:7], v[38:39]
	v_add_f64 v[6:7], v[14:15], v[32:33]
	v_fmac_f64_e32 v[136:137], s[0:1], v[18:19]
	v_add_f64 v[18:19], v[6:7], v[44:45]
	v_add_f64 v[6:7], v[32:33], v[44:45]
	buffer_store_dword v20, off, s[36:39], 0 offset:180 ; 4-byte Folded Spill
	ds_write_b128 v20, v[134:137] offset:96
	v_fmac_f64_e32 v[14:15], -0.5, v[6:7]
	v_add_f64 v[20:21], v[28:29], -v[38:39]
	v_fma_f64 v[6:7], s[2:3], v[20:21], v[14:15]
	v_fmac_f64_e32 v[14:15], s[0:1], v[20:21]
	v_add_f64 v[20:21], v[48:49], v[58:59]
	v_add_f64 v[22:23], v[8:9], v[48:49]
	v_fmac_f64_e32 v[8:9], -0.5, v[20:21]
	v_add_f64 v[24:25], v[52:53], -v[62:63]
	v_fma_f64 v[20:21], s[0:1], v[24:25], v[8:9]
	v_fmac_f64_e32 v[8:9], s[2:3], v[24:25]
	v_add_f64 v[24:25], v[22:23], v[58:59]
	v_add_f64 v[22:23], v[10:11], v[52:53]
	;; [unrolled: 1-line block ×4, first 2 shown]
	v_fmac_f64_e32 v[10:11], -0.5, v[22:23]
	v_add_f64 v[28:29], v[48:49], -v[58:59]
	v_fma_f64 v[22:23], s[2:3], v[28:29], v[10:11]
	v_fmac_f64_e32 v[10:11], s[0:1], v[28:29]
	v_add_f64 v[28:29], v[64:65], v[78:79]
	v_add_f64 v[30:31], v[0:1], v[64:65]
	v_fmac_f64_e32 v[0:1], -0.5, v[28:29]
	v_add_f64 v[32:33], v[68:69], -v[82:83]
	v_fma_f64 v[28:29], s[0:1], v[32:33], v[0:1]
	v_fmac_f64_e32 v[0:1], s[2:3], v[32:33]
	v_add_f64 v[32:33], v[30:31], v[78:79]
	v_add_f64 v[30:31], v[2:3], v[68:69]
	;; [unrolled: 1-line block ×4, first 2 shown]
	v_fmac_f64_e32 v[2:3], -0.5, v[30:31]
	v_add_f64 v[36:37], v[64:65], -v[78:79]
	v_fma_f64 v[30:31], s[2:3], v[36:37], v[2:3]
	v_fmac_f64_e32 v[2:3], s[0:1], v[36:37]
	v_mad_legacy_u16 v36, v74, 9, v100
	v_lshlrev_b32_e32 v36, 4, v36
	buffer_store_dword v140, off, s[36:39], 0 offset:316 ; 4-byte Folded Spill
	buffer_store_dword v75, off, s[36:39], 0 offset:280 ; 4-byte Folded Spill
	ds_write_b128 v36, v[16:19]
	ds_write_b128 v36, v[4:7] offset:48
	v_mad_legacy_u16 v4, v72, 9, v73
	v_lshlrev_b32_e32 v4, 4, v4
	buffer_store_dword v36, off, s[36:39], 0 offset:372 ; 4-byte Folded Spill
	ds_write_b128 v36, v[12:15] offset:96
	ds_write_b128 v4, v[24:27]
	ds_write_b128 v4, v[20:23] offset:48
	buffer_store_dword v4, off, s[36:39], 0 offset:352 ; 4-byte Folded Spill
	ds_write_b128 v4, v[8:11] offset:96
	v_mad_legacy_u16 v4, v103, 9, v106
	v_lshlrev_b32_e32 v4, 4, v4
	ds_write_b128 v4, v[32:35]
	ds_write_b128 v4, v[28:31] offset:48
	v_mov_b32_e32 v34, 57
	ds_write_b128 v4, v[0:3] offset:96
	v_mul_lo_u16_sdwa v0, v174, v34 dst_sel:DWORD dst_unused:UNUSED_PAD src0_sel:BYTE_0 src1_sel:DWORD
	v_lshrrev_b16_e32 v75, 9, v0
	v_mul_lo_u16_e32 v0, 9, v75
	v_sub_u16_e32 v0, v174, v0
	v_and_b32_e32 v92, 0xff, v0
	v_lshlrev_b32_e32 v0, 5, v92
	buffer_store_dword v4, off, s[36:39], 0 offset:260 ; 4-byte Folded Spill
	s_waitcnt lgkmcnt(0)
	; wave barrier
	s_waitcnt lgkmcnt(0)
	global_load_dwordx4 v[18:21], v0, s[14:15] offset:96
	global_load_dwordx4 v[26:29], v0, s[14:15] offset:112
	v_mul_lo_u16_sdwa v0, v124, v34 dst_sel:DWORD dst_unused:UNUSED_PAD src0_sel:BYTE_0 src1_sel:DWORD
	v_lshrrev_b16_e32 v73, 9, v0
	v_mul_lo_u16_e32 v0, 9, v73
	v_sub_u16_e32 v0, v124, v0
	v_and_b32_e32 v74, 0xff, v0
	v_lshlrev_b32_e32 v22, 5, v74
	global_load_dwordx4 v[30:33], v22, s[14:15] offset:96
	ds_read_b128 v[0:3], v116 offset:9072
	ds_read_b128 v[4:7], v116 offset:18144
	;; [unrolled: 1-line block ×4, first 2 shown]
	v_mov_b32_e32 v72, s15
	v_mul_lo_u16_e32 v75, 27, v75
	v_and_b32_e32 v75, 0xff, v75
	v_add_lshl_u32 v75, v75, v92, 4
	s_waitcnt vmcnt(2) lgkmcnt(3)
	v_mul_f64 v[12:13], v[2:3], v[20:21]
	v_fma_f64 v[12:13], v[0:1], v[18:19], -v[12:13]
	v_mul_f64 v[16:17], v[0:1], v[20:21]
	buffer_store_dword v18, off, s[36:39], 0 offset:712 ; 4-byte Folded Spill
	s_nop 0
	buffer_store_dword v19, off, s[36:39], 0 offset:716 ; 4-byte Folded Spill
	buffer_store_dword v20, off, s[36:39], 0 offset:720 ; 4-byte Folded Spill
	;; [unrolled: 1-line block ×3, first 2 shown]
	s_waitcnt vmcnt(5) lgkmcnt(2)
	v_mul_f64 v[0:1], v[6:7], v[28:29]
	v_fma_f64 v[20:21], v[4:5], v[26:27], -v[0:1]
	v_mul_f64 v[24:25], v[4:5], v[28:29]
	buffer_store_dword v26, off, s[36:39], 0 offset:680 ; 4-byte Folded Spill
	s_nop 0
	buffer_store_dword v27, off, s[36:39], 0 offset:684 ; 4-byte Folded Spill
	buffer_store_dword v28, off, s[36:39], 0 offset:688 ; 4-byte Folded Spill
	;; [unrolled: 1-line block ×3, first 2 shown]
	s_waitcnt vmcnt(8)
	v_accvgpr_write_b32 a175, v33
	v_accvgpr_write_b32 a174, v32
	v_accvgpr_write_b32 a173, v31
	v_accvgpr_write_b32 a172, v30
	v_fmac_f64_e32 v[16:17], v[2:3], v[18:19]
	v_fmac_f64_e32 v[24:25], v[6:7], v[26:27]
	ds_read_b128 v[0:3], v116 offset:10080
	ds_read_b128 v[4:7], v116 offset:11088
	global_load_dwordx4 v[36:39], v22, s[14:15] offset:112
	v_add_f64 v[142:143], v[16:17], -v[24:25]
	s_waitcnt lgkmcnt(1)
	v_mul_f64 v[14:15], v[2:3], v[32:33]
	v_fma_f64 v[14:15], v[0:1], v[30:31], -v[14:15]
	v_mul_f64 v[18:19], v[0:1], v[32:33]
	v_fmac_f64_e32 v[18:19], v[2:3], v[30:31]
	s_waitcnt vmcnt(0)
	v_mul_f64 v[0:1], v[10:11], v[38:39]
	v_fma_f64 v[26:27], v[8:9], v[36:37], -v[0:1]
	v_mul_lo_u16_sdwa v0, v121, v34 dst_sel:DWORD dst_unused:UNUSED_PAD src0_sel:BYTE_0 src1_sel:DWORD
	v_lshrrev_b16_e32 v93, 9, v0
	v_mul_lo_u16_e32 v0, 9, v93
	v_sub_u16_e32 v0, v121, v0
	v_and_b32_e32 v94, 0xff, v0
	v_mul_f64 v[30:31], v[8:9], v[38:39]
	v_lshlrev_b32_e32 v2, 5, v94
	v_fmac_f64_e32 v[30:31], v[10:11], v[36:37]
	global_load_dwordx4 v[8:11], v2, s[14:15] offset:96
	v_accvgpr_write_b32 a191, v39
	v_accvgpr_write_b32 a190, v38
	;; [unrolled: 1-line block ×4, first 2 shown]
	global_load_dwordx4 v[38:41], v2, s[14:15] offset:112
	s_waitcnt vmcnt(1) lgkmcnt(0)
	v_mul_f64 v[0:1], v[6:7], v[10:11]
	v_mul_f64 v[28:29], v[4:5], v[10:11]
	v_fma_f64 v[22:23], v[4:5], v[8:9], -v[0:1]
	v_fmac_f64_e32 v[28:29], v[6:7], v[8:9]
	ds_read_b128 v[0:3], v116 offset:20160
	ds_read_b128 v[4:7], v116 offset:21168
	v_accvgpr_write_b32 a203, v11
	v_accvgpr_write_b32 a202, v10
	;; [unrolled: 1-line block ×4, first 2 shown]
	s_waitcnt vmcnt(0) lgkmcnt(1)
	v_mul_f64 v[8:9], v[2:3], v[40:41]
	v_fma_f64 v[32:33], v[0:1], v[38:39], -v[8:9]
	v_mul_f64 v[36:37], v[0:1], v[40:41]
	v_mul_lo_u16_sdwa v0, v118, v34 dst_sel:DWORD dst_unused:UNUSED_PAD src0_sel:BYTE_0 src1_sel:DWORD
	v_lshrrev_b16_e32 v95, 9, v0
	v_mul_lo_u16_e32 v0, 9, v95
	v_sub_u16_e32 v0, v118, v0
	v_accvgpr_write_b32 a219, v41
	v_and_b32_e32 v96, 0xff, v0
	v_accvgpr_write_b32 a218, v40
	v_accvgpr_write_b32 a217, v39
	;; [unrolled: 1-line block ×3, first 2 shown]
	v_lshlrev_b32_e32 v40, 5, v96
	global_load_dwordx4 v[42:45], v40, s[14:15] offset:96
	v_fmac_f64_e32 v[36:37], v[2:3], v[38:39]
	ds_read_b128 v[0:3], v116 offset:12096
	ds_read_b128 v[8:11], v116 offset:13104
	s_waitcnt vmcnt(0)
	v_accvgpr_write_b32 a227, v45
	s_waitcnt lgkmcnt(1)
	v_mul_f64 v[34:35], v[2:3], v[44:45]
	v_mul_f64 v[38:39], v[0:1], v[44:45]
	v_accvgpr_write_b32 a226, v44
	v_accvgpr_write_b32 a225, v43
	;; [unrolled: 1-line block ×3, first 2 shown]
	global_load_dwordx4 v[44:47], v40, s[14:15] offset:112
	v_fma_f64 v[34:35], v[0:1], v[42:43], -v[34:35]
	v_fmac_f64_e32 v[38:39], v[2:3], v[42:43]
	s_waitcnt vmcnt(0)
	v_mul_f64 v[0:1], v[6:7], v[46:47]
	v_fma_f64 v[40:41], v[4:5], v[44:45], -v[0:1]
	v_mul_u32_u24_sdwa v0, v122, s6 dst_sel:DWORD dst_unused:UNUSED_PAD src0_sel:WORD_0 src1_sel:DWORD
	v_lshrrev_b32_e32 v97, 19, v0
	v_mul_lo_u16_e32 v0, 9, v97
	v_sub_u16_e32 v98, v122, v0
	v_lshlrev_b16_e32 v0, 5, v98
	v_add_co_u32_e32 v0, vcc, s14, v0
	v_mul_f64 v[42:43], v[4:5], v[46:47]
	v_addc_co_u32_e32 v1, vcc, 0, v72, vcc
	v_fmac_f64_e32 v[42:43], v[6:7], v[44:45]
	global_load_dwordx4 v[4:7], v[0:1], off offset:96
	global_load_dwordx4 v[52:55], v[0:1], off offset:112
	v_accvgpr_write_b32 a241, v47
	v_accvgpr_write_b32 a240, v46
	v_accvgpr_write_b32 a239, v45
	v_accvgpr_write_b32 a238, v44
	s_waitcnt vmcnt(1) lgkmcnt(0)
	v_mul_f64 v[2:3], v[10:11], v[6:7]
	v_mul_f64 v[46:47], v[8:9], v[6:7]
	v_accvgpr_write_b32 a115, v7
	v_fma_f64 v[44:45], v[8:9], v[4:5], -v[2:3]
	v_accvgpr_write_b32 a114, v6
	v_accvgpr_write_b32 a113, v5
	;; [unrolled: 1-line block ×3, first 2 shown]
	v_fmac_f64_e32 v[46:47], v[10:11], v[4:5]
	ds_read_b128 v[0:3], v116 offset:22176
	ds_read_b128 v[4:7], v116 offset:23184
	s_waitcnt vmcnt(0)
	v_accvgpr_write_b32 a36, v52
	v_accvgpr_write_b32 a37, v53
	;; [unrolled: 1-line block ×3, first 2 shown]
	s_waitcnt lgkmcnt(1)
	v_mul_f64 v[8:9], v[2:3], v[54:55]
	v_fma_f64 v[48:49], v[0:1], v[52:53], -v[8:9]
	v_mul_f64 v[50:51], v[0:1], v[54:55]
	v_mul_u32_u24_sdwa v0, v123, s6 dst_sel:DWORD dst_unused:UNUSED_PAD src0_sel:WORD_0 src1_sel:DWORD
	v_lshrrev_b32_e32 v99, 19, v0
	v_mul_lo_u16_e32 v0, 9, v99
	v_sub_u16_e32 v100, v123, v0
	v_lshlrev_b16_e32 v0, 5, v100
	v_add_co_u32_e32 v60, vcc, s14, v0
	v_addc_co_u32_e32 v61, vcc, 0, v72, vcc
	global_load_dwordx4 v[62:65], v[60:61], off offset:96
	v_fmac_f64_e32 v[50:51], v[2:3], v[52:53]
	ds_read_b128 v[0:3], v116 offset:14112
	ds_read_b128 v[8:11], v116 offset:15120
	global_load_dwordx4 v[66:69], v[60:61], off offset:112
	v_accvgpr_write_b32 a39, v55
	s_waitcnt vmcnt(1) lgkmcnt(1)
	v_mul_f64 v[52:53], v[2:3], v[64:65]
	v_fma_f64 v[52:53], v[0:1], v[62:63], -v[52:53]
	v_mul_f64 v[54:55], v[0:1], v[64:65]
	s_waitcnt vmcnt(0)
	v_mul_f64 v[0:1], v[6:7], v[68:69]
	v_fma_f64 v[60:61], v[4:5], v[66:67], -v[0:1]
	v_mul_u32_u24_sdwa v0, v120, s6 dst_sel:DWORD dst_unused:UNUSED_PAD src0_sel:WORD_0 src1_sel:DWORD
	v_lshrrev_b32_e32 v101, 19, v0
	v_mul_lo_u16_e32 v0, 9, v101
	v_sub_u16_e32 v102, v120, v0
	v_lshlrev_b16_e32 v0, 5, v102
	v_accvgpr_write_b32 a32, v62
	v_add_co_u32_e32 v0, vcc, s14, v0
	v_accvgpr_write_b32 a33, v63
	v_accvgpr_write_b32 a34, v64
	v_accvgpr_write_b32 a35, v65
	v_mul_f64 v[64:65], v[4:5], v[68:69]
	v_addc_co_u32_e32 v1, vcc, 0, v72, vcc
	v_fmac_f64_e32 v[64:65], v[6:7], v[66:67]
	global_load_dwordx4 v[4:7], v[0:1], off offset:96
	global_load_dwordx4 v[76:79], v[0:1], off offset:112
	v_accvgpr_write_b32 a58, v66
	v_fmac_f64_e32 v[54:55], v[2:3], v[62:63]
	v_accvgpr_write_b32 a59, v67
	v_accvgpr_write_b32 a60, v68
	;; [unrolled: 1-line block ×3, first 2 shown]
	s_waitcnt vmcnt(1) lgkmcnt(0)
	v_mul_f64 v[2:3], v[10:11], v[6:7]
	v_mul_f64 v[66:67], v[8:9], v[6:7]
	v_accvgpr_write_b32 a23, v7
	v_fma_f64 v[62:63], v[8:9], v[4:5], -v[2:3]
	v_accvgpr_write_b32 a22, v6
	v_accvgpr_write_b32 a21, v5
	;; [unrolled: 1-line block ×3, first 2 shown]
	v_fmac_f64_e32 v[66:67], v[10:11], v[4:5]
	ds_read_b128 v[0:3], v116 offset:24192
	ds_read_b128 v[4:7], v116 offset:25200
	s_waitcnt vmcnt(0)
	v_accvgpr_write_b32 a66, v76
	v_accvgpr_write_b32 a67, v77
	;; [unrolled: 1-line block ×3, first 2 shown]
	s_waitcnt lgkmcnt(1)
	v_mul_f64 v[8:9], v[2:3], v[78:79]
	v_fma_f64 v[68:69], v[0:1], v[76:77], -v[8:9]
	v_mul_f64 v[70:71], v[0:1], v[78:79]
	v_mul_u32_u24_sdwa v0, v119, s6 dst_sel:DWORD dst_unused:UNUSED_PAD src0_sel:WORD_0 src1_sel:DWORD
	v_lshrrev_b32_e32 v103, 19, v0
	v_mul_lo_u16_e32 v0, 9, v103
	v_sub_u16_e32 v104, v119, v0
	v_lshlrev_b16_e32 v0, 5, v104
	v_add_co_u32_e32 v80, vcc, s14, v0
	v_addc_co_u32_e32 v81, vcc, 0, v72, vcc
	global_load_dwordx4 v[82:85], v[80:81], off offset:96
	v_fmac_f64_e32 v[70:71], v[2:3], v[76:77]
	ds_read_b128 v[0:3], v116 offset:16128
	ds_read_b128 v[8:11], v116 offset:17136
	global_load_dwordx4 v[86:89], v[80:81], off offset:112
	v_accvgpr_write_b32 a69, v79
	s_waitcnt vmcnt(1) lgkmcnt(1)
	v_mul_f64 v[76:77], v[2:3], v[84:85]
	v_fma_f64 v[76:77], v[0:1], v[82:83], -v[76:77]
	v_mul_f64 v[78:79], v[0:1], v[84:85]
	s_waitcnt vmcnt(0)
	v_mul_f64 v[0:1], v[6:7], v[88:89]
	v_fma_f64 v[80:81], v[4:5], v[86:87], -v[0:1]
	v_mul_u32_u24_sdwa v0, v117, s6 dst_sel:DWORD dst_unused:UNUSED_PAD src0_sel:WORD_0 src1_sel:DWORD
	v_lshrrev_b32_e32 v105, 19, v0
	v_mul_lo_u16_e32 v0, 9, v105
	v_sub_u16_e32 v106, v117, v0
	v_lshlrev_b16_e32 v0, 5, v106
	v_accvgpr_write_b32 a16, v82
	v_add_co_u32_e32 v0, vcc, s14, v0
	v_accvgpr_write_b32 a17, v83
	v_accvgpr_write_b32 a18, v84
	;; [unrolled: 1-line block ×3, first 2 shown]
	v_mul_f64 v[84:85], v[4:5], v[88:89]
	v_addc_co_u32_e32 v1, vcc, 0, v72, vcc
	v_fmac_f64_e32 v[84:85], v[6:7], v[86:87]
	global_load_dwordx4 v[4:7], v[0:1], off offset:96
	v_fmac_f64_e32 v[78:79], v[2:3], v[82:83]
	v_accvgpr_write_b32 a12, v86
	v_accvgpr_write_b32 a13, v87
	;; [unrolled: 1-line block ×4, first 2 shown]
	s_movk_i32 s6, 0x2f69
	s_waitcnt vmcnt(0) lgkmcnt(0)
	v_mul_f64 v[2:3], v[10:11], v[6:7]
	v_accvgpr_write_b32 a11, v7
	v_fma_f64 v[82:83], v[8:9], v[4:5], -v[2:3]
	v_mul_f64 v[86:87], v[8:9], v[6:7]
	v_accvgpr_write_b32 a10, v6
	v_accvgpr_write_b32 a9, v5
	;; [unrolled: 1-line block ×3, first 2 shown]
	global_load_dwordx4 v[6:9], v[0:1], off offset:112
	ds_read_b128 v[0:3], v116 offset:26208
	v_fmac_f64_e32 v[86:87], v[10:11], v[4:5]
	s_waitcnt vmcnt(0) lgkmcnt(0)
	v_mul_f64 v[4:5], v[2:3], v[8:9]
	v_mul_f64 v[90:91], v[0:1], v[8:9]
	v_accvgpr_write_b32 a4, v6
	v_fma_f64 v[88:89], v[0:1], v[6:7], -v[4:5]
	v_accvgpr_write_b32 a5, v7
	v_accvgpr_write_b32 a6, v8
	;; [unrolled: 1-line block ×3, first 2 shown]
	v_fmac_f64_e32 v[90:91], v[2:3], v[6:7]
	ds_read_b128 v[4:7], v116
	ds_read_b128 v[0:3], v116 offset:1008
	ds_read_b128 v[108:111], v116 offset:2016
	ds_read_b128 v[112:115], v116 offset:3024
	ds_read_b128 v[126:129], v116 offset:4032
	ds_read_b128 v[130:133], v116 offset:5040
	ds_read_b128 v[134:137], v116 offset:6048
	ds_read_b128 v[138:141], v116 offset:7056
	s_waitcnt lgkmcnt(0)
	; wave barrier
	s_waitcnt lgkmcnt(0)
	v_add_f64 v[8:9], v[4:5], v[12:13]
	v_add_f64 v[10:11], v[6:7], v[16:17]
	;; [unrolled: 1-line block ×4, first 2 shown]
	ds_write_b128 v75, v[8:11]
	v_add_f64 v[8:9], v[12:13], v[20:21]
	v_fmac_f64_e32 v[4:5], -0.5, v[8:9]
	v_add_f64 v[8:9], v[16:17], v[24:25]
	v_fmac_f64_e32 v[6:7], -0.5, v[8:9]
	v_add_f64 v[12:13], v[12:13], -v[20:21]
	v_fma_f64 v[8:9], s[0:1], v[142:143], v[4:5]
	v_fma_f64 v[10:11], s[2:3], v[12:13], v[6:7]
	v_fmac_f64_e32 v[4:5], s[2:3], v[142:143]
	v_fmac_f64_e32 v[6:7], s[0:1], v[12:13]
	ds_write_b128 v75, v[8:11] offset:144
	ds_write_b128 v75, v[4:7] offset:288
	v_add_f64 v[4:5], v[0:1], v[14:15]
	v_add_f64 v[6:7], v[2:3], v[18:19]
	v_mul_u32_u24_e32 v8, 27, v73
	v_add_f64 v[4:5], v[4:5], v[26:27]
	v_add_f64 v[6:7], v[6:7], v[30:31]
	v_add_lshl_u32 v12, v8, v74, 4
	ds_write_b128 v12, v[4:7]
	v_add_f64 v[4:5], v[14:15], v[26:27]
	v_fmac_f64_e32 v[0:1], -0.5, v[4:5]
	v_add_f64 v[4:5], v[18:19], v[30:31]
	v_add_f64 v[8:9], v[18:19], -v[30:31]
	v_fmac_f64_e32 v[2:3], -0.5, v[4:5]
	v_add_f64 v[10:11], v[14:15], -v[26:27]
	v_fma_f64 v[4:5], s[0:1], v[8:9], v[0:1]
	v_fma_f64 v[6:7], s[2:3], v[10:11], v[2:3]
	v_fmac_f64_e32 v[0:1], s[2:3], v[8:9]
	v_fmac_f64_e32 v[2:3], s[0:1], v[10:11]
	ds_write_b128 v12, v[4:7] offset:144
	ds_write_b128 v12, v[0:3] offset:288
	v_add_f64 v[0:1], v[108:109], v[22:23]
	v_add_f64 v[2:3], v[110:111], v[28:29]
	v_mul_u32_u24_e32 v4, 27, v93
	v_add_f64 v[0:1], v[0:1], v[32:33]
	v_add_f64 v[2:3], v[2:3], v[36:37]
	v_add_lshl_u32 v8, v4, v94, 4
	ds_write_b128 v8, v[0:3]
	v_add_f64 v[0:1], v[22:23], v[32:33]
	v_fmac_f64_e32 v[108:109], -0.5, v[0:1]
	v_add_f64 v[0:1], v[28:29], v[36:37]
	v_add_f64 v[4:5], v[28:29], -v[36:37]
	v_fmac_f64_e32 v[110:111], -0.5, v[0:1]
	v_add_f64 v[6:7], v[22:23], -v[32:33]
	v_fma_f64 v[0:1], s[0:1], v[4:5], v[108:109]
	v_fma_f64 v[2:3], s[2:3], v[6:7], v[110:111]
	ds_write_b128 v8, v[0:3] offset:144
	v_fmac_f64_e32 v[108:109], s[2:3], v[4:5]
	v_fmac_f64_e32 v[110:111], s[0:1], v[6:7]
	v_add_f64 v[0:1], v[112:113], v[34:35]
	v_add_f64 v[2:3], v[114:115], v[38:39]
	v_mul_u32_u24_e32 v4, 27, v95
	buffer_store_dword v8, off, s[36:39], 0 offset:104 ; 4-byte Folded Spill
	ds_write_b128 v8, v[108:111] offset:288
	v_add_f64 v[0:1], v[0:1], v[40:41]
	v_add_f64 v[2:3], v[2:3], v[42:43]
	v_add_lshl_u32 v8, v4, v96, 4
	ds_write_b128 v8, v[0:3]
	v_add_f64 v[0:1], v[34:35], v[40:41]
	v_fmac_f64_e32 v[112:113], -0.5, v[0:1]
	v_add_f64 v[0:1], v[38:39], v[42:43]
	v_add_f64 v[4:5], v[38:39], -v[42:43]
	v_fmac_f64_e32 v[114:115], -0.5, v[0:1]
	v_add_f64 v[6:7], v[34:35], -v[40:41]
	v_fma_f64 v[0:1], s[0:1], v[4:5], v[112:113]
	v_fma_f64 v[2:3], s[2:3], v[6:7], v[114:115]
	ds_write_b128 v8, v[0:3] offset:144
	v_fmac_f64_e32 v[112:113], s[2:3], v[4:5]
	v_fmac_f64_e32 v[114:115], s[0:1], v[6:7]
	v_add_f64 v[0:1], v[126:127], v[44:45]
	v_add_f64 v[2:3], v[128:129], v[46:47]
	v_mad_legacy_u16 v4, v97, 27, v98
	buffer_store_dword v8, off, s[36:39], 0 ; 4-byte Folded Spill
	ds_write_b128 v8, v[112:115] offset:288
	v_add_f64 v[0:1], v[0:1], v[48:49]
	v_add_f64 v[2:3], v[2:3], v[50:51]
	v_lshlrev_b32_e32 v8, 4, v4
	ds_write_b128 v8, v[0:3]
	v_add_f64 v[0:1], v[44:45], v[48:49]
	v_fmac_f64_e32 v[126:127], -0.5, v[0:1]
	v_add_f64 v[0:1], v[46:47], v[50:51]
	v_add_f64 v[4:5], v[46:47], -v[50:51]
	v_fmac_f64_e32 v[128:129], -0.5, v[0:1]
	v_add_f64 v[6:7], v[44:45], -v[48:49]
	v_fma_f64 v[0:1], s[0:1], v[4:5], v[126:127]
	v_fma_f64 v[2:3], s[2:3], v[6:7], v[128:129]
	ds_write_b128 v8, v[0:3] offset:144
	v_fmac_f64_e32 v[126:127], s[2:3], v[4:5]
	v_fmac_f64_e32 v[128:129], s[0:1], v[6:7]
	v_add_f64 v[0:1], v[130:131], v[52:53]
	v_add_f64 v[2:3], v[132:133], v[54:55]
	v_mad_legacy_u16 v4, v99, 27, v100
	buffer_store_dword v8, off, s[36:39], 0 offset:4 ; 4-byte Folded Spill
	ds_write_b128 v8, v[126:129] offset:288
	v_add_f64 v[0:1], v[0:1], v[60:61]
	v_add_f64 v[2:3], v[2:3], v[64:65]
	v_lshlrev_b32_e32 v8, 4, v4
	ds_write_b128 v8, v[0:3]
	v_add_f64 v[0:1], v[52:53], v[60:61]
	v_fmac_f64_e32 v[130:131], -0.5, v[0:1]
	v_add_f64 v[0:1], v[54:55], v[64:65]
	v_add_f64 v[4:5], v[54:55], -v[64:65]
	v_fmac_f64_e32 v[132:133], -0.5, v[0:1]
	v_add_f64 v[6:7], v[52:53], -v[60:61]
	v_fma_f64 v[0:1], s[0:1], v[4:5], v[130:131]
	v_fma_f64 v[2:3], s[2:3], v[6:7], v[132:133]
	ds_write_b128 v8, v[0:3] offset:144
	v_fmac_f64_e32 v[130:131], s[2:3], v[4:5]
	v_fmac_f64_e32 v[132:133], s[0:1], v[6:7]
	v_add_f64 v[0:1], v[134:135], v[62:63]
	v_add_f64 v[2:3], v[136:137], v[66:67]
	v_mad_legacy_u16 v4, v101, 27, v102
	buffer_store_dword v8, off, s[36:39], 0 offset:12 ; 4-byte Folded Spill
	;; [unrolled: 20-line block ×4, first 2 shown]
	ds_write_b128 v8, v[138:141] offset:288
	v_add_f64 v[0:1], v[0:1], v[88:89]
	v_add_f64 v[2:3], v[2:3], v[90:91]
	v_lshlrev_b32_e32 v8, 4, v4
	ds_write_b128 v8, v[0:3]
	v_add_f64 v[0:1], v[82:83], v[88:89]
	v_fmac_f64_e32 v[56:57], -0.5, v[0:1]
	v_add_f64 v[0:1], v[86:87], v[90:91]
	v_add_f64 v[4:5], v[86:87], -v[90:91]
	v_fmac_f64_e32 v[58:59], -0.5, v[0:1]
	v_add_f64 v[6:7], v[82:83], -v[88:89]
	v_fma_f64 v[0:1], s[0:1], v[4:5], v[56:57]
	v_fma_f64 v[2:3], s[2:3], v[6:7], v[58:59]
	v_mov_b32_e32 v34, 19
	ds_write_b128 v8, v[0:3] offset:144
	v_mul_lo_u16_sdwa v0, v174, v34 dst_sel:DWORD dst_unused:UNUSED_PAD src0_sel:BYTE_0 src1_sel:DWORD
	v_lshrrev_b16_e32 v74, 9, v0
	v_mul_lo_u16_e32 v0, 27, v74
	v_sub_u16_e32 v0, v174, v0
	v_and_b32_e32 v92, 0xff, v0
	v_fmac_f64_e32 v[56:57], s[2:3], v[4:5]
	v_fmac_f64_e32 v[58:59], s[0:1], v[6:7]
	v_lshlrev_b32_e32 v6, 5, v92
	buffer_store_dword v75, off, s[36:39], 0 offset:176 ; 4-byte Folded Spill
	buffer_store_dword v12, off, s[36:39], 0 offset:140 ; 4-byte Folded Spill
	;; [unrolled: 1-line block ×3, first 2 shown]
	ds_write_b128 v8, v[56:59] offset:288
	s_waitcnt lgkmcnt(0)
	; wave barrier
	s_waitcnt lgkmcnt(0)
	global_load_dwordx4 v[8:11], v6, s[14:15] offset:384
	ds_read_b128 v[0:3], v116 offset:9072
	ds_read_b128 v[56:59], v116 offset:8064
	v_mul_lo_u16_e32 v74, 0x51, v74
	v_and_b32_e32 v74, 0xff, v74
	v_add_lshl_u32 v74, v74, v92, 4
	s_waitcnt vmcnt(0) lgkmcnt(1)
	v_mul_f64 v[4:5], v[2:3], v[10:11]
	v_fma_f64 v[12:13], v[0:1], v[8:9], -v[4:5]
	v_mul_f64 v[14:15], v[0:1], v[10:11]
	buffer_store_dword v8, off, s[36:39], 0 offset:504 ; 4-byte Folded Spill
	s_nop 0
	buffer_store_dword v9, off, s[36:39], 0 offset:508 ; 4-byte Folded Spill
	buffer_store_dword v10, off, s[36:39], 0 offset:512 ; 4-byte Folded Spill
	;; [unrolled: 1-line block ×3, first 2 shown]
	global_load_dwordx4 v[22:25], v6, s[14:15] offset:400
	v_fmac_f64_e32 v[14:15], v[2:3], v[8:9]
	ds_read_b128 v[0:3], v116 offset:18144
	ds_read_b128 v[4:7], v116 offset:19152
	s_waitcnt vmcnt(0) lgkmcnt(1)
	v_mul_f64 v[8:9], v[2:3], v[24:25]
	v_fma_f64 v[16:17], v[0:1], v[22:23], -v[8:9]
	v_mul_f64 v[20:21], v[0:1], v[24:25]
	v_mul_lo_u16_sdwa v0, v124, v34 dst_sel:DWORD dst_unused:UNUSED_PAD src0_sel:BYTE_0 src1_sel:DWORD
	v_lshrrev_b16_e32 v73, 9, v0
	v_mul_lo_u16_e32 v0, 27, v73
	v_sub_u16_e32 v0, v124, v0
	buffer_store_dword v22, off, s[36:39], 0 offset:520 ; 4-byte Folded Spill
	s_nop 0
	buffer_store_dword v23, off, s[36:39], 0 offset:524 ; 4-byte Folded Spill
	buffer_store_dword v24, off, s[36:39], 0 offset:528 ; 4-byte Folded Spill
	;; [unrolled: 1-line block ×3, first 2 shown]
	v_and_b32_e32 v75, 0xff, v0
	v_lshlrev_b32_e32 v24, 5, v75
	global_load_dwordx4 v[26:29], v24, s[14:15] offset:384
	v_fmac_f64_e32 v[20:21], v[2:3], v[22:23]
	ds_read_b128 v[0:3], v116 offset:10080
	ds_read_b128 v[8:11], v116 offset:11088
	v_add_f64 v[142:143], v[14:15], -v[20:21]
	s_waitcnt vmcnt(0) lgkmcnt(1)
	v_mul_f64 v[18:19], v[2:3], v[28:29]
	v_fma_f64 v[18:19], v[0:1], v[26:27], -v[18:19]
	v_mul_f64 v[22:23], v[0:1], v[28:29]
	buffer_store_dword v26, off, s[36:39], 0 offset:552 ; 4-byte Folded Spill
	s_nop 0
	buffer_store_dword v27, off, s[36:39], 0 offset:556 ; 4-byte Folded Spill
	buffer_store_dword v28, off, s[36:39], 0 offset:560 ; 4-byte Folded Spill
	;; [unrolled: 1-line block ×3, first 2 shown]
	global_load_dwordx4 v[36:39], v24, s[14:15] offset:400
	v_fmac_f64_e32 v[22:23], v[2:3], v[26:27]
	s_waitcnt vmcnt(0)
	v_mul_f64 v[0:1], v[6:7], v[38:39]
	v_fma_f64 v[26:27], v[4:5], v[36:37], -v[0:1]
	v_mul_f64 v[30:31], v[4:5], v[38:39]
	buffer_store_dword v36, off, s[36:39], 0 offset:536 ; 4-byte Folded Spill
	s_nop 0
	buffer_store_dword v37, off, s[36:39], 0 offset:540 ; 4-byte Folded Spill
	buffer_store_dword v38, off, s[36:39], 0 offset:544 ; 4-byte Folded Spill
	;; [unrolled: 1-line block ×3, first 2 shown]
	v_mul_lo_u16_sdwa v0, v121, v34 dst_sel:DWORD dst_unused:UNUSED_PAD src0_sel:BYTE_0 src1_sel:DWORD
	v_lshrrev_b16_e32 v93, 9, v0
	v_mul_lo_u16_e32 v0, 27, v93
	v_sub_u16_e32 v0, v121, v0
	v_and_b32_e32 v94, 0xff, v0
	v_lshlrev_b32_e32 v2, 5, v94
	v_fmac_f64_e32 v[30:31], v[6:7], v[36:37]
	global_load_dwordx4 v[4:7], v2, s[14:15] offset:384
	s_waitcnt vmcnt(0) lgkmcnt(0)
	v_mul_f64 v[0:1], v[10:11], v[6:7]
	v_fma_f64 v[24:25], v[8:9], v[4:5], -v[0:1]
	v_mul_f64 v[28:29], v[8:9], v[6:7]
	buffer_store_dword v4, off, s[36:39], 0 offset:568 ; 4-byte Folded Spill
	s_nop 0
	buffer_store_dword v5, off, s[36:39], 0 offset:572 ; 4-byte Folded Spill
	buffer_store_dword v6, off, s[36:39], 0 offset:576 ; 4-byte Folded Spill
	;; [unrolled: 1-line block ×3, first 2 shown]
	global_load_dwordx4 v[38:41], v2, s[14:15] offset:400
	v_fmac_f64_e32 v[28:29], v[10:11], v[4:5]
	ds_read_b128 v[0:3], v116 offset:20160
	ds_read_b128 v[4:7], v116 offset:21168
	s_waitcnt vmcnt(0) lgkmcnt(1)
	v_mul_f64 v[8:9], v[2:3], v[40:41]
	v_fma_f64 v[32:33], v[0:1], v[38:39], -v[8:9]
	v_mul_f64 v[36:37], v[0:1], v[40:41]
	v_mul_lo_u16_sdwa v0, v118, v34 dst_sel:DWORD dst_unused:UNUSED_PAD src0_sel:BYTE_0 src1_sel:DWORD
	v_lshrrev_b16_e32 v95, 9, v0
	v_mul_lo_u16_e32 v0, 27, v95
	v_sub_u16_e32 v0, v118, v0
	buffer_store_dword v38, off, s[36:39], 0 offset:584 ; 4-byte Folded Spill
	s_nop 0
	buffer_store_dword v39, off, s[36:39], 0 offset:588 ; 4-byte Folded Spill
	buffer_store_dword v40, off, s[36:39], 0 offset:592 ; 4-byte Folded Spill
	;; [unrolled: 1-line block ×3, first 2 shown]
	v_and_b32_e32 v96, 0xff, v0
	v_lshlrev_b32_e32 v40, 5, v96
	global_load_dwordx4 v[42:45], v40, s[14:15] offset:384
	v_fmac_f64_e32 v[36:37], v[2:3], v[38:39]
	ds_read_b128 v[0:3], v116 offset:12096
	ds_read_b128 v[8:11], v116 offset:13104
	s_waitcnt vmcnt(0) lgkmcnt(1)
	v_mul_f64 v[34:35], v[2:3], v[44:45]
	v_fma_f64 v[34:35], v[0:1], v[42:43], -v[34:35]
	v_mul_f64 v[38:39], v[0:1], v[44:45]
	buffer_store_dword v42, off, s[36:39], 0 offset:600 ; 4-byte Folded Spill
	s_nop 0
	buffer_store_dword v43, off, s[36:39], 0 offset:604 ; 4-byte Folded Spill
	buffer_store_dword v44, off, s[36:39], 0 offset:608 ; 4-byte Folded Spill
	;; [unrolled: 1-line block ×3, first 2 shown]
	global_load_dwordx4 v[44:47], v40, s[14:15] offset:400
	v_fmac_f64_e32 v[38:39], v[2:3], v[42:43]
	s_waitcnt vmcnt(0)
	v_mul_f64 v[0:1], v[6:7], v[46:47]
	v_fma_f64 v[40:41], v[4:5], v[44:45], -v[0:1]
	v_mul_f64 v[42:43], v[4:5], v[46:47]
	buffer_store_dword v44, off, s[36:39], 0 offset:616 ; 4-byte Folded Spill
	s_nop 0
	buffer_store_dword v45, off, s[36:39], 0 offset:620 ; 4-byte Folded Spill
	buffer_store_dword v46, off, s[36:39], 0 offset:624 ; 4-byte Folded Spill
	;; [unrolled: 1-line block ×3, first 2 shown]
	v_mul_u32_u24_sdwa v0, v122, s6 dst_sel:DWORD dst_unused:UNUSED_PAD src0_sel:WORD_0 src1_sel:DWORD
	v_sub_u16_sdwa v1, v122, v0 dst_sel:DWORD dst_unused:UNUSED_PAD src0_sel:DWORD src1_sel:WORD_1
	v_lshrrev_b16_e32 v1, 1, v1
	v_add_u16_sdwa v0, v1, v0 dst_sel:DWORD dst_unused:UNUSED_PAD src0_sel:DWORD src1_sel:WORD_1
	v_lshrrev_b16_e32 v97, 4, v0
	v_mul_lo_u16_e32 v0, 27, v97
	v_sub_u16_e32 v98, v122, v0
	v_lshlrev_b16_e32 v0, 5, v98
	v_add_co_u32_e32 v0, vcc, s14, v0
	v_addc_co_u32_e32 v1, vcc, 0, v72, vcc
	v_fmac_f64_e32 v[42:43], v[6:7], v[44:45]
	global_load_dwordx4 v[4:7], v[0:1], off offset:384
	s_waitcnt vmcnt(0) lgkmcnt(0)
	v_mul_f64 v[2:3], v[10:11], v[6:7]
	v_fma_f64 v[44:45], v[8:9], v[4:5], -v[2:3]
	v_mul_f64 v[46:47], v[8:9], v[6:7]
	buffer_store_dword v4, off, s[36:39], 0 offset:648 ; 4-byte Folded Spill
	s_nop 0
	buffer_store_dword v5, off, s[36:39], 0 offset:652 ; 4-byte Folded Spill
	buffer_store_dword v6, off, s[36:39], 0 offset:656 ; 4-byte Folded Spill
	;; [unrolled: 1-line block ×3, first 2 shown]
	global_load_dwordx4 v[52:55], v[0:1], off offset:400
	v_fmac_f64_e32 v[46:47], v[10:11], v[4:5]
	ds_read_b128 v[0:3], v116 offset:22176
	ds_read_b128 v[4:7], v116 offset:23184
	s_waitcnt vmcnt(0) lgkmcnt(1)
	v_mul_f64 v[8:9], v[2:3], v[54:55]
	v_fma_f64 v[48:49], v[0:1], v[52:53], -v[8:9]
	v_mul_f64 v[50:51], v[0:1], v[54:55]
	v_mul_u32_u24_sdwa v0, v123, s6 dst_sel:DWORD dst_unused:UNUSED_PAD src0_sel:WORD_0 src1_sel:DWORD
	v_sub_u16_sdwa v1, v123, v0 dst_sel:DWORD dst_unused:UNUSED_PAD src0_sel:DWORD src1_sel:WORD_1
	v_lshrrev_b16_e32 v1, 1, v1
	v_add_u16_sdwa v0, v1, v0 dst_sel:DWORD dst_unused:UNUSED_PAD src0_sel:DWORD src1_sel:WORD_1
	v_lshrrev_b16_e32 v99, 4, v0
	v_mul_lo_u16_e32 v0, 27, v99
	v_sub_u16_e32 v100, v123, v0
	v_lshlrev_b16_e32 v0, 5, v100
	v_add_co_u32_e32 v60, vcc, s14, v0
	buffer_store_dword v52, off, s[36:39], 0 offset:664 ; 4-byte Folded Spill
	s_nop 0
	buffer_store_dword v53, off, s[36:39], 0 offset:668 ; 4-byte Folded Spill
	buffer_store_dword v54, off, s[36:39], 0 offset:672 ; 4-byte Folded Spill
	;; [unrolled: 1-line block ×3, first 2 shown]
	v_addc_co_u32_e32 v61, vcc, 0, v72, vcc
	global_load_dwordx4 v[62:65], v[60:61], off offset:384
	v_fmac_f64_e32 v[50:51], v[2:3], v[52:53]
	ds_read_b128 v[0:3], v116 offset:14112
	ds_read_b128 v[8:11], v116 offset:15120
	s_waitcnt vmcnt(0) lgkmcnt(1)
	v_mul_f64 v[52:53], v[2:3], v[64:65]
	v_fma_f64 v[52:53], v[0:1], v[62:63], -v[52:53]
	v_mul_f64 v[54:55], v[0:1], v[64:65]
	buffer_store_dword v62, off, s[36:39], 0 offset:696 ; 4-byte Folded Spill
	s_nop 0
	buffer_store_dword v63, off, s[36:39], 0 offset:700 ; 4-byte Folded Spill
	buffer_store_dword v64, off, s[36:39], 0 offset:704 ; 4-byte Folded Spill
	;; [unrolled: 1-line block ×3, first 2 shown]
	global_load_dwordx4 v[64:67], v[60:61], off offset:400
	v_fmac_f64_e32 v[54:55], v[2:3], v[62:63]
	s_waitcnt vmcnt(0)
	v_mul_f64 v[0:1], v[6:7], v[66:67]
	v_fma_f64 v[60:61], v[4:5], v[64:65], -v[0:1]
	v_mul_u32_u24_sdwa v0, v120, s6 dst_sel:DWORD dst_unused:UNUSED_PAD src0_sel:WORD_0 src1_sel:DWORD
	v_sub_u16_sdwa v1, v120, v0 dst_sel:DWORD dst_unused:UNUSED_PAD src0_sel:DWORD src1_sel:WORD_1
	v_lshrrev_b16_e32 v1, 1, v1
	v_add_u16_sdwa v0, v1, v0 dst_sel:DWORD dst_unused:UNUSED_PAD src0_sel:DWORD src1_sel:WORD_1
	v_lshrrev_b16_e32 v101, 4, v0
	v_mul_lo_u16_e32 v0, 27, v101
	v_sub_u16_e32 v102, v120, v0
	v_lshlrev_b16_e32 v0, 5, v102
	v_add_co_u32_e32 v0, vcc, s14, v0
	v_mul_f64 v[62:63], v[4:5], v[66:67]
	v_addc_co_u32_e32 v1, vcc, 0, v72, vcc
	v_fmac_f64_e32 v[62:63], v[6:7], v[64:65]
	global_load_dwordx4 v[4:7], v[0:1], off offset:384
	global_load_dwordx4 v[76:79], v[0:1], off offset:400
	v_accvgpr_write_b32 a187, v67
	v_accvgpr_write_b32 a186, v66
	;; [unrolled: 1-line block ×4, first 2 shown]
	s_waitcnt vmcnt(1) lgkmcnt(0)
	v_mul_f64 v[2:3], v[10:11], v[6:7]
	v_mul_f64 v[66:67], v[8:9], v[6:7]
	v_accvgpr_write_b32 a199, v7
	v_fma_f64 v[64:65], v[8:9], v[4:5], -v[2:3]
	v_accvgpr_write_b32 a198, v6
	v_accvgpr_write_b32 a197, v5
	;; [unrolled: 1-line block ×3, first 2 shown]
	v_fmac_f64_e32 v[66:67], v[10:11], v[4:5]
	ds_read_b128 v[0:3], v116 offset:24192
	ds_read_b128 v[4:7], v116 offset:25200
	s_waitcnt vmcnt(0)
	v_accvgpr_write_b32 a211, v79
	v_accvgpr_write_b32 a210, v78
	;; [unrolled: 1-line block ×3, first 2 shown]
	s_waitcnt lgkmcnt(1)
	v_mul_f64 v[8:9], v[2:3], v[78:79]
	v_fma_f64 v[68:69], v[0:1], v[76:77], -v[8:9]
	v_mul_f64 v[70:71], v[0:1], v[78:79]
	v_mul_u32_u24_sdwa v0, v119, s6 dst_sel:DWORD dst_unused:UNUSED_PAD src0_sel:WORD_0 src1_sel:DWORD
	v_sub_u16_sdwa v1, v119, v0 dst_sel:DWORD dst_unused:UNUSED_PAD src0_sel:DWORD src1_sel:WORD_1
	v_lshrrev_b16_e32 v1, 1, v1
	v_add_u16_sdwa v0, v1, v0 dst_sel:DWORD dst_unused:UNUSED_PAD src0_sel:DWORD src1_sel:WORD_1
	v_lshrrev_b16_e32 v103, 4, v0
	v_mul_lo_u16_e32 v0, 27, v103
	v_sub_u16_e32 v104, v119, v0
	v_lshlrev_b16_e32 v0, 5, v104
	v_add_co_u32_e32 v80, vcc, s14, v0
	v_addc_co_u32_e32 v81, vcc, 0, v72, vcc
	global_load_dwordx4 v[82:85], v[80:81], off offset:384
	v_fmac_f64_e32 v[70:71], v[2:3], v[76:77]
	ds_read_b128 v[0:3], v116 offset:16128
	ds_read_b128 v[8:11], v116 offset:17136
	v_accvgpr_write_b32 a208, v76
	s_waitcnt vmcnt(0)
	v_accvgpr_write_b32 a231, v85
	s_waitcnt lgkmcnt(1)
	v_mul_f64 v[76:77], v[2:3], v[84:85]
	v_mul_f64 v[78:79], v[0:1], v[84:85]
	v_accvgpr_write_b32 a230, v84
	v_accvgpr_write_b32 a229, v83
	;; [unrolled: 1-line block ×3, first 2 shown]
	global_load_dwordx4 v[84:87], v[80:81], off offset:400
	v_fma_f64 v[76:77], v[0:1], v[82:83], -v[76:77]
	v_fmac_f64_e32 v[78:79], v[2:3], v[82:83]
	s_waitcnt vmcnt(0)
	v_mul_f64 v[0:1], v[6:7], v[86:87]
	v_fma_f64 v[80:81], v[4:5], v[84:85], -v[0:1]
	v_mul_u32_u24_sdwa v0, v117, s6 dst_sel:DWORD dst_unused:UNUSED_PAD src0_sel:WORD_0 src1_sel:DWORD
	v_sub_u16_sdwa v1, v117, v0 dst_sel:DWORD dst_unused:UNUSED_PAD src0_sel:DWORD src1_sel:WORD_1
	v_lshrrev_b16_e32 v1, 1, v1
	v_add_u16_sdwa v0, v1, v0 dst_sel:DWORD dst_unused:UNUSED_PAD src0_sel:DWORD src1_sel:WORD_1
	v_lshrrev_b16_e32 v105, 4, v0
	v_mul_lo_u16_e32 v0, 27, v105
	v_sub_u16_e32 v106, v117, v0
	v_lshlrev_b16_e32 v0, 5, v106
	v_add_co_u32_e32 v0, vcc, s14, v0
	v_mul_f64 v[82:83], v[4:5], v[86:87]
	v_addc_co_u32_e32 v1, vcc, 0, v72, vcc
	v_fmac_f64_e32 v[82:83], v[6:7], v[84:85]
	global_load_dwordx4 v[4:7], v[0:1], off offset:384
	v_accvgpr_write_b32 a245, v87
	v_accvgpr_write_b32 a244, v86
	;; [unrolled: 1-line block ×4, first 2 shown]
	s_movk_i32 s6, 0x51
	s_waitcnt vmcnt(0) lgkmcnt(0)
	v_mul_f64 v[2:3], v[10:11], v[6:7]
	v_accvgpr_write_b32 a57, v7
	v_fma_f64 v[84:85], v[8:9], v[4:5], -v[2:3]
	v_mul_f64 v[86:87], v[8:9], v[6:7]
	v_accvgpr_write_b32 a56, v6
	v_accvgpr_write_b32 a55, v5
	;; [unrolled: 1-line block ×3, first 2 shown]
	global_load_dwordx4 v[6:9], v[0:1], off offset:400
	ds_read_b128 v[0:3], v116 offset:26208
	v_fmac_f64_e32 v[86:87], v[10:11], v[4:5]
	s_waitcnt vmcnt(0) lgkmcnt(0)
	v_mul_f64 v[4:5], v[2:3], v[8:9]
	v_mul_f64 v[90:91], v[0:1], v[8:9]
	v_accvgpr_write_b32 a53, v9
	v_fma_f64 v[88:89], v[0:1], v[6:7], -v[4:5]
	v_accvgpr_write_b32 a52, v8
	v_accvgpr_write_b32 a51, v7
	;; [unrolled: 1-line block ×3, first 2 shown]
	v_fmac_f64_e32 v[90:91], v[2:3], v[6:7]
	ds_read_b128 v[4:7], v116
	ds_read_b128 v[0:3], v116 offset:1008
	ds_read_b128 v[108:111], v116 offset:2016
	;; [unrolled: 1-line block ×7, first 2 shown]
	s_waitcnt lgkmcnt(0)
	; wave barrier
	s_waitcnt lgkmcnt(0)
	v_add_f64 v[8:9], v[4:5], v[12:13]
	v_add_f64 v[10:11], v[6:7], v[14:15]
	v_add_f64 v[8:9], v[8:9], v[16:17]
	v_add_f64 v[10:11], v[10:11], v[20:21]
	ds_write_b128 v74, v[8:11]
	v_add_f64 v[8:9], v[12:13], v[16:17]
	v_fmac_f64_e32 v[4:5], -0.5, v[8:9]
	v_add_f64 v[8:9], v[14:15], v[20:21]
	v_fmac_f64_e32 v[6:7], -0.5, v[8:9]
	v_add_f64 v[12:13], v[12:13], -v[16:17]
	v_fma_f64 v[8:9], s[0:1], v[142:143], v[4:5]
	v_fma_f64 v[10:11], s[2:3], v[12:13], v[6:7]
	v_fmac_f64_e32 v[4:5], s[2:3], v[142:143]
	v_fmac_f64_e32 v[6:7], s[0:1], v[12:13]
	ds_write_b128 v74, v[8:11] offset:432
	ds_write_b128 v74, v[4:7] offset:864
	v_add_f64 v[4:5], v[0:1], v[18:19]
	v_add_f64 v[6:7], v[2:3], v[22:23]
	v_mul_u32_u24_e32 v8, 0x51, v73
	v_add_f64 v[4:5], v[4:5], v[26:27]
	v_add_f64 v[6:7], v[6:7], v[30:31]
	v_add_lshl_u32 v12, v8, v75, 4
	ds_write_b128 v12, v[4:7]
	v_add_f64 v[4:5], v[18:19], v[26:27]
	v_fmac_f64_e32 v[0:1], -0.5, v[4:5]
	v_add_f64 v[4:5], v[22:23], v[30:31]
	v_add_f64 v[8:9], v[22:23], -v[30:31]
	v_fmac_f64_e32 v[2:3], -0.5, v[4:5]
	v_add_f64 v[10:11], v[18:19], -v[26:27]
	v_fma_f64 v[4:5], s[0:1], v[8:9], v[0:1]
	v_fma_f64 v[6:7], s[2:3], v[10:11], v[2:3]
	v_fmac_f64_e32 v[0:1], s[2:3], v[8:9]
	v_fmac_f64_e32 v[2:3], s[0:1], v[10:11]
	ds_write_b128 v12, v[4:7] offset:432
	ds_write_b128 v12, v[0:3] offset:864
	v_add_f64 v[0:1], v[108:109], v[24:25]
	v_add_f64 v[2:3], v[110:111], v[28:29]
	v_mul_u32_u24_e32 v4, 0x51, v93
	v_add_f64 v[0:1], v[0:1], v[32:33]
	v_add_f64 v[2:3], v[2:3], v[36:37]
	v_add_lshl_u32 v8, v4, v94, 4
	ds_write_b128 v8, v[0:3]
	v_add_f64 v[0:1], v[24:25], v[32:33]
	v_fmac_f64_e32 v[108:109], -0.5, v[0:1]
	v_add_f64 v[0:1], v[28:29], v[36:37]
	v_add_f64 v[4:5], v[28:29], -v[36:37]
	v_fmac_f64_e32 v[110:111], -0.5, v[0:1]
	v_add_f64 v[6:7], v[24:25], -v[32:33]
	v_fma_f64 v[0:1], s[0:1], v[4:5], v[108:109]
	v_fma_f64 v[2:3], s[2:3], v[6:7], v[110:111]
	ds_write_b128 v8, v[0:3] offset:432
	v_fmac_f64_e32 v[108:109], s[2:3], v[4:5]
	v_fmac_f64_e32 v[110:111], s[0:1], v[6:7]
	v_add_f64 v[0:1], v[112:113], v[34:35]
	v_add_f64 v[2:3], v[114:115], v[38:39]
	v_mul_u32_u24_e32 v4, 0x51, v95
	buffer_store_dword v8, off, s[36:39], 0 offset:752 ; 4-byte Folded Spill
	ds_write_b128 v8, v[108:111] offset:864
	v_add_f64 v[0:1], v[0:1], v[40:41]
	v_add_f64 v[2:3], v[2:3], v[42:43]
	v_add_lshl_u32 v8, v4, v96, 4
	ds_write_b128 v8, v[0:3]
	v_add_f64 v[0:1], v[34:35], v[40:41]
	v_fmac_f64_e32 v[112:113], -0.5, v[0:1]
	v_add_f64 v[0:1], v[38:39], v[42:43]
	v_add_f64 v[4:5], v[38:39], -v[42:43]
	v_fmac_f64_e32 v[114:115], -0.5, v[0:1]
	v_add_f64 v[6:7], v[34:35], -v[40:41]
	v_fma_f64 v[0:1], s[0:1], v[4:5], v[112:113]
	v_fma_f64 v[2:3], s[2:3], v[6:7], v[114:115]
	ds_write_b128 v8, v[0:3] offset:432
	v_fmac_f64_e32 v[112:113], s[2:3], v[4:5]
	v_fmac_f64_e32 v[114:115], s[0:1], v[6:7]
	v_add_f64 v[0:1], v[126:127], v[44:45]
	v_add_f64 v[2:3], v[128:129], v[46:47]
	v_mad_legacy_u16 v4, v97, s6, v98
	buffer_store_dword v8, off, s[36:39], 0 offset:760 ; 4-byte Folded Spill
	ds_write_b128 v8, v[112:115] offset:864
	v_add_f64 v[0:1], v[0:1], v[48:49]
	v_add_f64 v[2:3], v[2:3], v[50:51]
	v_lshlrev_b32_e32 v8, 4, v4
	ds_write_b128 v8, v[0:3]
	v_add_f64 v[0:1], v[44:45], v[48:49]
	v_fmac_f64_e32 v[126:127], -0.5, v[0:1]
	v_add_f64 v[0:1], v[46:47], v[50:51]
	v_add_f64 v[4:5], v[46:47], -v[50:51]
	v_fmac_f64_e32 v[128:129], -0.5, v[0:1]
	v_add_f64 v[6:7], v[44:45], -v[48:49]
	v_fma_f64 v[0:1], s[0:1], v[4:5], v[126:127]
	v_fma_f64 v[2:3], s[2:3], v[6:7], v[128:129]
	ds_write_b128 v8, v[0:3] offset:432
	v_fmac_f64_e32 v[126:127], s[2:3], v[4:5]
	v_fmac_f64_e32 v[128:129], s[0:1], v[6:7]
	v_add_f64 v[0:1], v[130:131], v[52:53]
	v_add_f64 v[2:3], v[132:133], v[54:55]
	v_mad_legacy_u16 v4, v99, s6, v100
	v_accvgpr_write_b32 a237, v8
	ds_write_b128 v8, v[126:129] offset:864
	v_add_f64 v[0:1], v[0:1], v[60:61]
	v_add_f64 v[2:3], v[2:3], v[62:63]
	v_lshlrev_b32_e32 v8, 4, v4
	ds_write_b128 v8, v[0:3]
	v_add_f64 v[0:1], v[52:53], v[60:61]
	v_fmac_f64_e32 v[130:131], -0.5, v[0:1]
	v_add_f64 v[0:1], v[54:55], v[62:63]
	v_add_f64 v[4:5], v[54:55], -v[62:63]
	v_fmac_f64_e32 v[132:133], -0.5, v[0:1]
	v_add_f64 v[6:7], v[52:53], -v[60:61]
	v_fma_f64 v[0:1], s[0:1], v[4:5], v[130:131]
	v_fma_f64 v[2:3], s[2:3], v[6:7], v[132:133]
	ds_write_b128 v8, v[0:3] offset:432
	v_fmac_f64_e32 v[130:131], s[2:3], v[4:5]
	v_fmac_f64_e32 v[132:133], s[0:1], v[6:7]
	v_add_f64 v[0:1], v[134:135], v[64:65]
	v_add_f64 v[2:3], v[136:137], v[66:67]
	v_mad_legacy_u16 v4, v101, s6, v102
	v_accvgpr_write_b32 a171, v8
	;; [unrolled: 20-line block ×4, first 2 shown]
	ds_write_b128 v8, v[138:141] offset:864
	v_add_f64 v[0:1], v[0:1], v[88:89]
	v_add_f64 v[2:3], v[2:3], v[90:91]
	v_lshlrev_b32_e32 v8, 4, v4
	ds_write_b128 v8, v[0:3]
	v_add_f64 v[0:1], v[84:85], v[88:89]
	v_fmac_f64_e32 v[56:57], -0.5, v[0:1]
	v_add_f64 v[0:1], v[86:87], v[90:91]
	v_add_f64 v[4:5], v[86:87], -v[90:91]
	v_fmac_f64_e32 v[58:59], -0.5, v[0:1]
	v_add_f64 v[6:7], v[84:85], -v[88:89]
	v_fma_f64 v[0:1], s[0:1], v[4:5], v[56:57]
	v_fma_f64 v[2:3], s[2:3], v[6:7], v[58:59]
	v_fmac_f64_e32 v[56:57], s[2:3], v[4:5]
	v_fmac_f64_e32 v[58:59], s[0:1], v[6:7]
	v_lshlrev_b32_e32 v6, 5, v174
	buffer_store_dword v74, off, s[36:39], 0 offset:736 ; 4-byte Folded Spill
	buffer_store_dword v12, off, s[36:39], 0 offset:744 ; 4-byte Folded Spill
	ds_write_b128 v8, v[0:3] offset:432
	v_accvgpr_write_b32 a170, v8
	ds_write_b128 v8, v[56:59] offset:864
	s_waitcnt lgkmcnt(0)
	; wave barrier
	s_waitcnt lgkmcnt(0)
	global_load_dwordx4 v[8:11], v6, s[14:15] offset:1248
	ds_read_b128 v[0:3], v116 offset:9072
	ds_read_b128 v[212:215], v116 offset:8064
	s_movk_i32 s6, 0xffee
	s_waitcnt vmcnt(0)
	v_accvgpr_write_b32 a85, v11
	s_waitcnt lgkmcnt(1)
	v_mul_f64 v[4:5], v[2:3], v[10:11]
	v_mul_f64 v[36:37], v[0:1], v[10:11]
	v_accvgpr_write_b32 a84, v10
	v_accvgpr_write_b32 a83, v9
	v_accvgpr_write_b32 a82, v8
	global_load_dwordx4 v[10:13], v6, s[14:15] offset:1264
	v_fma_f64 v[34:35], v[0:1], v[8:9], -v[4:5]
	v_fmac_f64_e32 v[36:37], v[2:3], v[8:9]
	ds_read_b128 v[0:3], v116 offset:18144
	ds_read_b128 v[4:7], v116 offset:19152
	s_waitcnt vmcnt(0) lgkmcnt(1)
	v_mul_f64 v[8:9], v[2:3], v[12:13]
	v_fma_f64 v[38:39], v[0:1], v[10:11], -v[8:9]
	v_mul_f64 v[40:41], v[0:1], v[12:13]
	v_add_co_u32_e32 v0, vcc, s6, v174
	v_addc_co_u32_e64 v1, s[6:7], 0, -1, vcc
	v_cmp_gt_u16_e32 vcc, 18, v174
	v_cndmask_b32_e32 v33, v1, v125, vcc
	v_cndmask_b32_e32 v32, v0, v124, vcc
	v_accvgpr_write_b32 a103, v13
	v_lshlrev_b64 v[0:1], 5, v[32:33]
	v_accvgpr_write_b32 a102, v12
	v_accvgpr_write_b32 a101, v11
	;; [unrolled: 1-line block ×3, first 2 shown]
	v_add_co_u32_e32 v12, vcc, s14, v0
	v_addc_co_u32_e32 v13, vcc, v72, v1, vcc
	global_load_dwordx4 v[16:19], v[12:13], off offset:1248
	v_fmac_f64_e32 v[40:41], v[2:3], v[10:11]
	ds_read_b128 v[0:3], v116 offset:10080
	ds_read_b128 v[8:11], v116 offset:11088
	s_movk_i32 s6, 0xcb
	v_add_f64 v[84:85], v[36:37], -v[40:41]
	s_waitcnt vmcnt(0) lgkmcnt(1)
	v_mul_f64 v[14:15], v[2:3], v[18:19]
	v_fma_f64 v[42:43], v[0:1], v[16:17], -v[14:15]
	global_load_dwordx4 v[12:15], v[12:13], off offset:1264
	v_mul_f64 v[44:45], v[0:1], v[18:19]
	v_fmac_f64_e32 v[44:45], v[2:3], v[16:17]
	v_accvgpr_write_b32 a111, v19
	v_accvgpr_write_b32 a110, v18
	;; [unrolled: 1-line block ×4, first 2 shown]
	s_waitcnt vmcnt(0)
	v_mul_f64 v[0:1], v[6:7], v[14:15]
	v_fma_f64 v[46:47], v[4:5], v[12:13], -v[0:1]
	v_mul_lo_u16_sdwa v0, v121, s6 dst_sel:DWORD dst_unused:UNUSED_PAD src0_sel:BYTE_0 src1_sel:DWORD
	v_lshrrev_b16_e32 v33, 14, v0
	v_mul_lo_u16_e32 v0, 0x51, v33
	v_sub_u16_e32 v0, v121, v0
	v_and_b32_e32 v73, 0xff, v0
	v_mul_f64 v[50:51], v[4:5], v[14:15]
	v_lshlrev_b32_e32 v2, 5, v73
	v_fmac_f64_e32 v[50:51], v[6:7], v[12:13]
	global_load_dwordx4 v[4:7], v2, s[14:15] offset:1248
	v_accvgpr_write_b32 a107, v15
	v_accvgpr_write_b32 a106, v14
	;; [unrolled: 1-line block ×4, first 2 shown]
	s_waitcnt vmcnt(0) lgkmcnt(0)
	v_mul_f64 v[52:53], v[8:9], v[6:7]
	v_mul_f64 v[0:1], v[10:11], v[6:7]
	v_fmac_f64_e32 v[52:53], v[10:11], v[4:5]
	global_load_dwordx4 v[10:13], v2, s[14:15] offset:1264
	v_accvgpr_write_b32 a49, v7
	v_fma_f64 v[48:49], v[8:9], v[4:5], -v[0:1]
	v_accvgpr_write_b32 a48, v6
	v_accvgpr_write_b32 a47, v5
	;; [unrolled: 1-line block ×3, first 2 shown]
	ds_read_b128 v[0:3], v116 offset:20160
	ds_read_b128 v[4:7], v116 offset:21168
	s_waitcnt vmcnt(0) lgkmcnt(1)
	v_mul_f64 v[8:9], v[2:3], v[12:13]
	v_fma_f64 v[54:55], v[0:1], v[10:11], -v[8:9]
	v_mul_f64 v[58:59], v[0:1], v[12:13]
	v_mul_lo_u16_sdwa v0, v118, s6 dst_sel:DWORD dst_unused:UNUSED_PAD src0_sel:BYTE_0 src1_sel:DWORD
	v_lshrrev_b16_e32 v74, 14, v0
	v_mul_lo_u16_e32 v0, 0x51, v74
	v_sub_u16_e32 v0, v118, v0
	v_and_b32_e32 v75, 0xff, v0
	v_lshlrev_b32_e32 v14, 5, v75
	global_load_dwordx4 v[16:19], v14, s[14:15] offset:1248
	v_accvgpr_write_b32 a119, v13
	v_accvgpr_write_b32 a118, v12
	;; [unrolled: 1-line block ×4, first 2 shown]
	v_fmac_f64_e32 v[58:59], v[2:3], v[10:11]
	ds_read_b128 v[0:3], v116 offset:12096
	ds_read_b128 v[8:11], v116 offset:13104
	s_movk_i32 s6, 0x6523
	s_waitcnt vmcnt(0) lgkmcnt(1)
	v_mul_f64 v[12:13], v[2:3], v[18:19]
	v_fma_f64 v[56:57], v[0:1], v[16:17], -v[12:13]
	global_load_dwordx4 v[12:15], v14, s[14:15] offset:1264
	v_mul_f64 v[60:61], v[0:1], v[18:19]
	v_fmac_f64_e32 v[60:61], v[2:3], v[16:17]
	v_accvgpr_write_b32 a123, v19
	v_accvgpr_write_b32 a122, v18
	;; [unrolled: 1-line block ×4, first 2 shown]
	s_waitcnt vmcnt(0)
	v_mul_f64 v[0:1], v[6:7], v[14:15]
	v_fma_f64 v[62:63], v[4:5], v[12:13], -v[0:1]
	v_mul_u32_u24_sdwa v0, v122, s6 dst_sel:DWORD dst_unused:UNUSED_PAD src0_sel:WORD_0 src1_sel:DWORD
	v_lshrrev_b32_e32 v0, 21, v0
	v_mul_lo_u16_e32 v0, 0x51, v0
	v_sub_u16_e32 v76, v122, v0
	v_lshlrev_b16_e32 v0, 5, v76
	v_add_co_u32_e32 v0, vcc, s14, v0
	v_mul_f64 v[64:65], v[4:5], v[14:15]
	v_addc_co_u32_e32 v1, vcc, 0, v72, vcc
	v_fmac_f64_e32 v[64:65], v[6:7], v[12:13]
	global_load_dwordx4 v[4:7], v[0:1], off offset:1248
	v_accvgpr_write_b32 a133, v15
	v_accvgpr_write_b32 a132, v14
	;; [unrolled: 1-line block ×4, first 2 shown]
	s_waitcnt vmcnt(0) lgkmcnt(0)
	v_mul_f64 v[68:69], v[8:9], v[6:7]
	v_mul_f64 v[2:3], v[10:11], v[6:7]
	v_fmac_f64_e32 v[68:69], v[10:11], v[4:5]
	global_load_dwordx4 v[10:13], v[0:1], off offset:1264
	v_accvgpr_write_b32 a127, v7
	v_fma_f64 v[66:67], v[8:9], v[4:5], -v[2:3]
	v_accvgpr_write_b32 a126, v6
	v_accvgpr_write_b32 a125, v5
	;; [unrolled: 1-line block ×3, first 2 shown]
	ds_read_b128 v[0:3], v116 offset:22176
	ds_read_b128 v[4:7], v116 offset:23184
	s_waitcnt vmcnt(0) lgkmcnt(1)
	v_mul_f64 v[8:9], v[2:3], v[12:13]
	v_fma_f64 v[70:71], v[0:1], v[10:11], -v[8:9]
	v_mul_f64 v[140:141], v[0:1], v[12:13]
	v_mul_u32_u24_sdwa v0, v123, s6 dst_sel:DWORD dst_unused:UNUSED_PAD src0_sel:WORD_0 src1_sel:DWORD
	v_lshrrev_b32_e32 v78, 21, v0
	v_mul_lo_u16_e32 v0, 0x51, v78
	v_sub_u16_e32 v80, v123, v0
	v_accvgpr_write_b32 a137, v13
	v_lshlrev_b16_e32 v0, 5, v80
	v_accvgpr_write_b32 a136, v12
	v_accvgpr_write_b32 a135, v11
	;; [unrolled: 1-line block ×3, first 2 shown]
	v_add_co_u32_e32 v12, vcc, s14, v0
	v_addc_co_u32_e32 v13, vcc, 0, v72, vcc
	global_load_dwordx4 v[16:19], v[12:13], off offset:1248
	v_fmac_f64_e32 v[140:141], v[2:3], v[10:11]
	ds_read_b128 v[0:3], v116 offset:14112
	ds_read_b128 v[8:11], v116 offset:15120
	s_waitcnt vmcnt(0) lgkmcnt(1)
	v_mul_f64 v[14:15], v[2:3], v[18:19]
	v_fma_f64 v[142:143], v[0:1], v[16:17], -v[14:15]
	global_load_dwordx4 v[12:15], v[12:13], off offset:1264
	v_mul_f64 v[144:145], v[0:1], v[18:19]
	v_fmac_f64_e32 v[144:145], v[2:3], v[16:17]
	v_accvgpr_write_b32 a145, v19
	v_accvgpr_write_b32 a144, v18
	;; [unrolled: 1-line block ×4, first 2 shown]
	s_waitcnt vmcnt(0)
	v_mul_f64 v[0:1], v[6:7], v[14:15]
	v_fma_f64 v[146:147], v[4:5], v[12:13], -v[0:1]
	v_mul_u32_u24_sdwa v0, v120, s6 dst_sel:DWORD dst_unused:UNUSED_PAD src0_sel:WORD_0 src1_sel:DWORD
	v_lshrrev_b32_e32 v81, 21, v0
	v_mul_lo_u16_e32 v0, 0x51, v81
	v_sub_u16_e32 v82, v120, v0
	v_lshlrev_b16_e32 v0, 5, v82
	v_add_co_u32_e32 v0, vcc, s14, v0
	v_mul_f64 v[150:151], v[4:5], v[14:15]
	v_addc_co_u32_e32 v1, vcc, 0, v72, vcc
	v_fmac_f64_e32 v[150:151], v[6:7], v[12:13]
	global_load_dwordx4 v[4:7], v[0:1], off offset:1248
	v_accvgpr_write_b32 a149, v15
	v_accvgpr_write_b32 a148, v14
	;; [unrolled: 1-line block ×4, first 2 shown]
	s_waitcnt vmcnt(0) lgkmcnt(0)
	v_mul_f64 v[152:153], v[8:9], v[6:7]
	v_mul_f64 v[2:3], v[10:11], v[6:7]
	v_fmac_f64_e32 v[152:153], v[10:11], v[4:5]
	global_load_dwordx4 v[10:13], v[0:1], off offset:1264
	v_accvgpr_write_b32 a153, v7
	v_fma_f64 v[148:149], v[8:9], v[4:5], -v[2:3]
	v_accvgpr_write_b32 a152, v6
	v_accvgpr_write_b32 a151, v5
	;; [unrolled: 1-line block ×3, first 2 shown]
	ds_read_b128 v[0:3], v116 offset:24192
	ds_read_b128 v[4:7], v116 offset:25200
	s_waitcnt vmcnt(0) lgkmcnt(1)
	v_mul_f64 v[8:9], v[2:3], v[12:13]
	v_fma_f64 v[154:155], v[0:1], v[10:11], -v[8:9]
	v_mul_f64 v[156:157], v[0:1], v[12:13]
	v_mul_u32_u24_sdwa v0, v119, s6 dst_sel:DWORD dst_unused:UNUSED_PAD src0_sel:WORD_0 src1_sel:DWORD
	v_lshrrev_b32_e32 v77, 21, v0
	v_mul_lo_u16_e32 v0, 0x51, v77
	v_sub_u16_e32 v79, v119, v0
	v_accvgpr_write_b32 a157, v13
	v_lshlrev_b16_e32 v0, 5, v79
	v_accvgpr_write_b32 a156, v12
	v_accvgpr_write_b32 a155, v11
	;; [unrolled: 1-line block ×3, first 2 shown]
	v_add_co_u32_e32 v12, vcc, s14, v0
	v_addc_co_u32_e32 v13, vcc, 0, v72, vcc
	global_load_dwordx4 v[16:19], v[12:13], off offset:1248
	v_fmac_f64_e32 v[156:157], v[2:3], v[10:11]
	ds_read_b128 v[0:3], v116 offset:16128
	ds_read_b128 v[8:11], v116 offset:17136
	s_waitcnt vmcnt(0) lgkmcnt(1)
	v_mul_f64 v[14:15], v[2:3], v[18:19]
	v_fma_f64 v[158:159], v[0:1], v[16:17], -v[14:15]
	global_load_dwordx4 v[12:15], v[12:13], off offset:1264
	v_mul_f64 v[160:161], v[0:1], v[18:19]
	v_fmac_f64_e32 v[160:161], v[2:3], v[16:17]
	v_accvgpr_write_b32 a169, v19
	v_accvgpr_write_b32 a168, v18
	;; [unrolled: 1-line block ×4, first 2 shown]
	s_waitcnt vmcnt(0)
	v_mul_f64 v[0:1], v[6:7], v[14:15]
	v_fma_f64 v[162:163], v[4:5], v[12:13], -v[0:1]
	v_mul_u32_u24_sdwa v0, v117, s6 dst_sel:DWORD dst_unused:UNUSED_PAD src0_sel:WORD_0 src1_sel:DWORD
	v_lshrrev_b32_e32 v0, 21, v0
	v_mul_lo_u16_e32 v0, 0x51, v0
	v_sub_u16_e32 v83, v117, v0
	v_lshlrev_b16_e32 v0, 5, v83
	v_add_co_u32_e32 v0, vcc, s14, v0
	v_mul_f64 v[164:165], v[4:5], v[14:15]
	v_addc_co_u32_e32 v1, vcc, 0, v72, vcc
	v_fmac_f64_e32 v[164:165], v[6:7], v[12:13]
	global_load_dwordx4 v[4:7], v[0:1], off offset:1248
	v_accvgpr_write_b32 a161, v15
	v_accvgpr_write_b32 a160, v14
	;; [unrolled: 1-line block ×4, first 2 shown]
	v_cmp_lt_u16_e32 vcc, 17, v174
	s_movk_i32 s6, 0xf3
	v_lshlrev_b32_e32 v117, 4, v83
	s_waitcnt vmcnt(0) lgkmcnt(0)
	v_mul_f64 v[2:3], v[10:11], v[6:7]
	v_accvgpr_write_b32 a179, v7
	v_fma_f64 v[166:167], v[8:9], v[4:5], -v[2:3]
	v_mul_f64 v[168:169], v[8:9], v[6:7]
	v_accvgpr_write_b32 a178, v6
	v_accvgpr_write_b32 a177, v5
	;; [unrolled: 1-line block ×3, first 2 shown]
	global_load_dwordx4 v[6:9], v[0:1], off offset:1264
	ds_read_b128 v[0:3], v116 offset:26208
	ds_read_b128 v[24:27], v116
	ds_read_b128 v[20:23], v116 offset:1008
	v_fmac_f64_e32 v[168:169], v[10:11], v[4:5]
	s_waitcnt vmcnt(0) lgkmcnt(2)
	v_mul_f64 v[4:5], v[2:3], v[8:9]
	v_fma_f64 v[170:171], v[0:1], v[6:7], -v[4:5]
	v_mul_f64 v[172:173], v[0:1], v[8:9]
	s_waitcnt lgkmcnt(1)
	v_add_f64 v[0:1], v[24:25], v[34:35]
	v_add_f64 v[28:29], v[0:1], v[38:39]
	;; [unrolled: 1-line block ×3, first 2 shown]
	v_accvgpr_write_b32 a165, v9
	v_add_f64 v[30:31], v[0:1], v[40:41]
	v_accvgpr_write_b32 a164, v8
	v_accvgpr_write_b32 a163, v7
	;; [unrolled: 1-line block ×3, first 2 shown]
	v_fmac_f64_e32 v[172:173], v[2:3], v[6:7]
	ds_read_b128 v[16:19], v116 offset:2016
	ds_read_b128 v[12:15], v116 offset:3024
	;; [unrolled: 1-line block ×6, first 2 shown]
	s_waitcnt lgkmcnt(0)
	; wave barrier
	s_waitcnt lgkmcnt(0)
	ds_write_b128 v116, v[28:31]
	v_add_f64 v[28:29], v[34:35], v[38:39]
	v_fmac_f64_e32 v[24:25], -0.5, v[28:29]
	v_add_f64 v[28:29], v[36:37], v[40:41]
	v_fmac_f64_e32 v[26:27], -0.5, v[28:29]
	v_add_f64 v[34:35], v[34:35], -v[38:39]
	v_fma_f64 v[28:29], s[0:1], v[84:85], v[24:25]
	v_fma_f64 v[30:31], s[2:3], v[34:35], v[26:27]
	ds_write_b128 v116, v[28:31] offset:1296
	v_fmac_f64_e32 v[24:25], s[2:3], v[84:85]
	v_fmac_f64_e32 v[26:27], s[0:1], v[34:35]
	v_mov_b32_e32 v28, 0xf3
	ds_write_b128 v116, v[24:27] offset:2592
	v_add_f64 v[24:25], v[20:21], v[42:43]
	v_add_f64 v[26:27], v[22:23], v[44:45]
	v_cndmask_b32_e32 v28, 0, v28, vcc
	v_add_f64 v[24:25], v[24:25], v[46:47]
	v_add_f64 v[26:27], v[26:27], v[50:51]
	v_add_lshl_u32 v32, v32, v28, 4
	ds_write_b128 v32, v[24:27]
	v_add_f64 v[24:25], v[42:43], v[46:47]
	v_fmac_f64_e32 v[20:21], -0.5, v[24:25]
	v_add_f64 v[24:25], v[44:45], v[50:51]
	v_add_f64 v[28:29], v[44:45], -v[50:51]
	v_fmac_f64_e32 v[22:23], -0.5, v[24:25]
	v_add_f64 v[30:31], v[42:43], -v[46:47]
	v_fma_f64 v[24:25], s[0:1], v[28:29], v[20:21]
	v_fma_f64 v[26:27], s[2:3], v[30:31], v[22:23]
	v_fmac_f64_e32 v[20:21], s[2:3], v[28:29]
	v_fmac_f64_e32 v[22:23], s[0:1], v[30:31]
	ds_write_b128 v32, v[24:27] offset:1296
	ds_write_b128 v32, v[20:23] offset:2592
	v_add_f64 v[20:21], v[16:17], v[48:49]
	v_add_f64 v[22:23], v[18:19], v[52:53]
	v_mul_u32_u24_e32 v24, 0xf3, v33
	v_add_f64 v[20:21], v[20:21], v[54:55]
	v_add_f64 v[22:23], v[22:23], v[58:59]
	v_add_lshl_u32 v28, v24, v73, 4
	ds_write_b128 v28, v[20:23]
	v_add_f64 v[20:21], v[48:49], v[54:55]
	v_fmac_f64_e32 v[16:17], -0.5, v[20:21]
	v_add_f64 v[20:21], v[52:53], v[58:59]
	v_add_f64 v[24:25], v[52:53], -v[58:59]
	v_fmac_f64_e32 v[18:19], -0.5, v[20:21]
	v_add_f64 v[26:27], v[48:49], -v[54:55]
	v_fma_f64 v[20:21], s[0:1], v[24:25], v[16:17]
	v_fma_f64 v[22:23], s[2:3], v[26:27], v[18:19]
	v_fmac_f64_e32 v[16:17], s[2:3], v[24:25]
	v_fmac_f64_e32 v[18:19], s[0:1], v[26:27]
	ds_write_b128 v28, v[20:23] offset:1296
	ds_write_b128 v28, v[16:19] offset:2592
	v_add_f64 v[16:17], v[12:13], v[56:57]
	v_add_f64 v[18:19], v[14:15], v[60:61]
	v_mul_u32_u24_e32 v20, 0xf3, v74
	v_add_f64 v[16:17], v[16:17], v[62:63]
	v_add_f64 v[18:19], v[18:19], v[64:65]
	v_add_lshl_u32 v24, v20, v75, 4
	ds_write_b128 v24, v[16:19]
	v_add_f64 v[16:17], v[56:57], v[62:63]
	v_fmac_f64_e32 v[12:13], -0.5, v[16:17]
	v_add_f64 v[16:17], v[60:61], v[64:65]
	v_add_f64 v[20:21], v[60:61], -v[64:65]
	v_fmac_f64_e32 v[14:15], -0.5, v[16:17]
	v_add_f64 v[22:23], v[56:57], -v[62:63]
	v_fma_f64 v[16:17], s[0:1], v[20:21], v[12:13]
	v_fma_f64 v[18:19], s[2:3], v[22:23], v[14:15]
	v_fmac_f64_e32 v[12:13], s[2:3], v[20:21]
	v_fmac_f64_e32 v[14:15], s[0:1], v[22:23]
	ds_write_b128 v24, v[12:15] offset:2592
	v_add_f64 v[12:13], v[8:9], v[66:67]
	v_add_f64 v[14:15], v[10:11], v[68:69]
	;; [unrolled: 1-line block ×4, first 2 shown]
	v_lshlrev_b32_e32 v20, 4, v76
	ds_write_b128 v24, v[16:19] offset:1296
	ds_write_b128 v20, v[12:15] offset:11664
	v_add_f64 v[12:13], v[66:67], v[70:71]
	v_fmac_f64_e32 v[8:9], -0.5, v[12:13]
	v_add_f64 v[12:13], v[68:69], v[140:141]
	v_add_f64 v[16:17], v[68:69], -v[140:141]
	v_fmac_f64_e32 v[10:11], -0.5, v[12:13]
	v_add_f64 v[18:19], v[66:67], -v[70:71]
	v_fma_f64 v[12:13], s[0:1], v[16:17], v[8:9]
	v_fma_f64 v[14:15], s[2:3], v[18:19], v[10:11]
	v_fmac_f64_e32 v[8:9], s[2:3], v[16:17]
	v_fmac_f64_e32 v[10:11], s[0:1], v[18:19]
	ds_write_b128 v20, v[12:15] offset:12960
	ds_write_b128 v20, v[8:11] offset:14256
	v_add_f64 v[8:9], v[4:5], v[142:143]
	v_add_f64 v[10:11], v[6:7], v[144:145]
	v_mad_legacy_u16 v12, v78, s6, v80
	v_add_f64 v[8:9], v[8:9], v[146:147]
	v_add_f64 v[10:11], v[10:11], v[150:151]
	v_lshlrev_b32_e32 v16, 4, v12
	ds_write_b128 v16, v[8:11]
	v_add_f64 v[8:9], v[142:143], v[146:147]
	v_fmac_f64_e32 v[4:5], -0.5, v[8:9]
	v_add_f64 v[8:9], v[144:145], v[150:151]
	v_add_f64 v[12:13], v[144:145], -v[150:151]
	v_fmac_f64_e32 v[6:7], -0.5, v[8:9]
	v_add_f64 v[14:15], v[142:143], -v[146:147]
	v_fma_f64 v[8:9], s[0:1], v[12:13], v[4:5]
	v_fma_f64 v[10:11], s[2:3], v[14:15], v[6:7]
	v_fmac_f64_e32 v[4:5], s[2:3], v[12:13]
	v_fmac_f64_e32 v[6:7], s[0:1], v[14:15]
	ds_write_b128 v16, v[8:11] offset:1296
	ds_write_b128 v16, v[4:7] offset:2592
	v_add_f64 v[4:5], v[0:1], v[148:149]
	v_add_f64 v[6:7], v[2:3], v[152:153]
	v_mad_legacy_u16 v8, v81, s6, v82
	v_add_f64 v[4:5], v[4:5], v[154:155]
	v_add_f64 v[6:7], v[6:7], v[156:157]
	v_lshlrev_b32_e32 v143, 4, v8
	ds_write_b128 v143, v[4:7]
	v_add_f64 v[4:5], v[148:149], v[154:155]
	v_fmac_f64_e32 v[0:1], -0.5, v[4:5]
	v_add_f64 v[4:5], v[152:153], v[156:157]
	v_add_f64 v[8:9], v[152:153], -v[156:157]
	v_fmac_f64_e32 v[2:3], -0.5, v[4:5]
	v_add_f64 v[10:11], v[148:149], -v[154:155]
	v_fma_f64 v[4:5], s[0:1], v[8:9], v[0:1]
	v_fma_f64 v[6:7], s[2:3], v[10:11], v[2:3]
	v_fmac_f64_e32 v[0:1], s[2:3], v[8:9]
	v_fmac_f64_e32 v[2:3], s[0:1], v[10:11]
	ds_write_b128 v143, v[0:3] offset:2592
	v_add_f64 v[0:1], v[220:221], v[158:159]
	v_add_f64 v[216:217], v[0:1], v[162:163]
	;; [unrolled: 1-line block ×5, first 2 shown]
	v_fmac_f64_e32 v[222:223], -0.5, v[0:1]
	v_add_f64 v[0:1], v[158:159], -v[162:163]
	v_fma_f64 v[234:235], s[2:3], v[0:1], v[222:223]
	v_fmac_f64_e32 v[222:223], s[0:1], v[0:1]
	v_add_f64 v[0:1], v[212:213], v[166:167]
	v_add_f64 v[240:241], v[0:1], v[170:171]
	;; [unrolled: 1-line block ×6, first 2 shown]
	v_fmac_f64_e32 v[220:221], -0.5, v[2:3]
	v_add_f64 v[2:3], v[160:161], -v[164:165]
	v_fmac_f64_e32 v[214:215], -0.5, v[0:1]
	v_add_f64 v[0:1], v[166:167], -v[170:171]
	v_fma_f64 v[232:233], s[0:1], v[2:3], v[220:221]
	v_fmac_f64_e32 v[220:221], s[2:3], v[2:3]
	v_add_f64 v[2:3], v[166:167], v[170:171]
	v_fma_f64 v[246:247], s[2:3], v[0:1], v[214:215]
	v_fmac_f64_e32 v[214:215], s[0:1], v[0:1]
	v_mad_legacy_u16 v0, v77, s6, v79
	v_fmac_f64_e32 v[212:213], -0.5, v[2:3]
	v_add_f64 v[2:3], v[168:169], -v[172:173]
	v_lshlrev_b32_e32 v0, 4, v0
	v_accvgpr_write_b32 a128, v28
	v_accvgpr_write_b32 a91, v24
	v_accvgpr_write_b32 a129, v20
	v_mov_b32_e32 v142, v16
	ds_write_b128 v143, v[4:7] offset:1296
	v_fma_f64 v[244:245], s[0:1], v[2:3], v[212:213]
	v_fmac_f64_e32 v[212:213], s[2:3], v[2:3]
	ds_write_b128 v0, v[216:219]
	ds_write_b128 v0, v[232:235] offset:1296
	v_accvgpr_write_b32 a236, v0
	ds_write_b128 v0, v[220:223] offset:2592
	ds_write_b128 v117, v[240:243] offset:23328
	;; [unrolled: 1-line block ×4, first 2 shown]
	s_waitcnt lgkmcnt(0)
	; wave barrier
	s_waitcnt lgkmcnt(0)
	ds_read_b128 v[236:239], v116
	ds_read_b128 v[228:231], v116 offset:1008
	ds_read_b128 v[52:55], v116 offset:7776
	;; [unrolled: 1-line block ×20, first 2 shown]
	s_load_dwordx2 s[2:3], s[4:5], 0x38
	v_accvgpr_write_b32 a45, v32
	v_cmp_gt_u16_e64 s[0:1], 54, v174
                                        ; implicit-def: $vgpr32_vgpr33
	s_and_saveexec_b64 s[4:5], s[0:1]
	s_cbranch_execz .LBB0_3
; %bb.2:
	ds_read_b128 v[216:219], v116 offset:3024
	ds_read_b128 v[232:235], v116 offset:6912
	;; [unrolled: 1-line block ×7, first 2 shown]
.LBB0_3:
	s_or_b64 exec, exec, s[4:5]
	s_movk_i32 s4, 0x60
	v_pk_mov_b32 v[68:69], s[14:15], s[14:15] op_sel:[0,1]
	v_accvgpr_read_b32 v72, a44
	v_mad_u64_u32 v[68:69], s[4:5], v72, s4, v[68:69]
	global_load_dwordx4 v[152:155], v[68:69], off offset:3840
	global_load_dwordx4 v[148:151], v[68:69], off offset:3856
	;; [unrolled: 1-line block ×6, first 2 shown]
	s_movk_i32 s4, 0x17a0
	v_add_co_u32_e32 v70, vcc, s4, v68
	v_addc_co_u32_e32 v71, vcc, 0, v69, vcc
	global_load_dwordx4 v[176:179], v[70:71], off offset:3840
	global_load_dwordx4 v[172:175], v[70:71], off offset:3856
	;; [unrolled: 1-line block ×6, first 2 shown]
	s_movk_i32 s4, 0x2f40
	v_add_co_u32_e32 v68, vcc, s4, v68
	v_addc_co_u32_e32 v69, vcc, 0, v69, vcc
	global_load_dwordx4 v[200:203], v[68:69], off offset:3840
	global_load_dwordx4 v[196:199], v[68:69], off offset:3856
	;; [unrolled: 1-line block ×6, first 2 shown]
	v_subrev_u32_e32 v70, 54, v72
	v_cndmask_b32_e64 v68, v70, v118, s[0:1]
	v_mul_hi_i32_i24_e32 v69, 0x60, v68
	v_mul_i32_i24_e32 v68, 0x60, v68
	v_mov_b32_e32 v71, s15
	v_add_co_u32_e32 v68, vcc, s14, v68
	v_addc_co_u32_e32 v69, vcc, v71, v69, vcc
	global_load_dwordx4 v[134:137], v[68:69], off offset:3840
	global_load_dwordx4 v[130:133], v[68:69], off offset:3856
	;; [unrolled: 1-line block ×6, first 2 shown]
	s_mov_b32 s22, 0x37e14327
	s_mov_b32 s14, 0x36b3c0b5
	;; [unrolled: 1-line block ×20, first 2 shown]
	s_waitcnt vmcnt(23) lgkmcnt(0)
	v_mul_f64 v[90:91], v[56:57], v[154:155]
	v_mul_f64 v[68:69], v[58:59], v[154:155]
	s_waitcnt vmcnt(21)
	v_mul_f64 v[94:95], v[60:61], v[146:147]
	s_waitcnt vmcnt(20)
	v_mul_f64 v[96:97], v[48:49], v[82:83]
	v_mul_f64 v[74:75], v[50:51], v[82:83]
	s_waitcnt vmcnt(18)
	v_mul_f64 v[78:79], v[46:47], v[158:159]
	v_mul_f64 v[106:107], v[44:45], v[158:159]
	v_fmac_f64_e32 v[96:97], v[50:51], v[80:81]
	v_fma_f64 v[110:111], v[44:45], v[156:157], -v[78:79]
	s_waitcnt vmcnt(16)
	v_mul_f64 v[78:79], v[28:29], v[174:175]
	s_waitcnt vmcnt(14)
	v_mul_f64 v[50:51], v[22:23], v[166:167]
	v_fmac_f64_e32 v[106:107], v[46:47], v[156:157]
	v_mul_f64 v[46:47], v[30:31], v[174:175]
	v_fmac_f64_e32 v[78:79], v[30:31], v[172:173]
	v_fma_f64 v[30:31], v[20:21], v[164:165], -v[50:51]
	v_mul_f64 v[112:113], v[20:21], v[166:167]
	s_waitcnt vmcnt(13)
	v_mul_f64 v[20:21], v[26:27], v[186:187]
	v_fma_f64 v[114:115], v[24:25], v[184:185], -v[20:21]
	s_waitcnt vmcnt(12)
	v_mul_f64 v[20:21], v[14:15], v[182:183]
	v_fma_f64 v[88:89], v[12:13], v[180:181], -v[20:21]
	v_mul_f64 v[120:121], v[12:13], v[182:183]
	s_waitcnt vmcnt(11)
	v_mul_f64 v[12:13], v[18:19], v[202:203]
	v_mul_f64 v[76:77], v[66:67], v[162:163]
	v_fmac_f64_e32 v[90:91], v[58:59], v[152:153]
	v_fma_f64 v[58:59], v[16:17], v[200:201], -v[12:13]
	s_waitcnt vmcnt(10)
	v_mul_f64 v[12:13], v[10:11], v[198:199]
	v_mul_f64 v[72:73], v[62:63], v[146:147]
	;; [unrolled: 1-line block ×3, first 2 shown]
	v_fmac_f64_e32 v[94:95], v[62:63], v[144:145]
	v_fma_f64 v[108:109], v[64:65], v[160:161], -v[76:77]
	v_fma_f64 v[62:63], v[8:9], v[196:197], -v[12:13]
	v_mul_f64 v[64:65], v[8:9], v[198:199]
	s_waitcnt vmcnt(9)
	v_mul_f64 v[8:9], v[6:7], v[194:195]
	v_mul_f64 v[70:71], v[54:55], v[150:151]
	v_fma_f64 v[118:119], v[56:57], v[152:153], -v[68:69]
	v_fmac_f64_e32 v[104:105], v[66:67], v[160:161]
	v_fma_f64 v[66:67], v[4:5], v[192:193], -v[8:9]
	v_mul_f64 v[68:69], v[4:5], v[194:195]
	s_waitcnt vmcnt(8)
	v_mul_f64 v[4:5], v[2:3], v[190:191]
	v_fma_f64 v[98:99], v[52:53], v[148:149], -v[70:71]
	v_fma_f64 v[100:101], v[60:61], v[144:145], -v[72:73]
	;; [unrolled: 1-line block ×3, first 2 shown]
	v_mul_f64 v[72:73], v[0:1], v[190:191]
	s_waitcnt vmcnt(6)
	v_mul_f64 v[0:1], v[254:255], v[210:211]
	v_fma_f64 v[102:103], v[48:49], v[80:81], -v[74:75]
	v_accvgpr_write_b32 a183, v83
	v_fma_f64 v[74:75], v[252:253], v[208:209], -v[0:1]
	v_mul_f64 v[252:253], v[252:253], v[210:211]
	v_mul_f64 v[0:1], v[250:251], v[206:207]
	v_accvgpr_write_b32 a182, v82
	v_accvgpr_write_b32 a181, v81
	;; [unrolled: 1-line block ×3, first 2 shown]
	v_mul_f64 v[44:45], v[38:39], v[178:179]
	v_mul_f64 v[80:81], v[36:37], v[178:179]
	v_fmac_f64_e32 v[252:253], v[254:255], v[208:209]
	v_fma_f64 v[254:255], v[248:249], v[204:205], -v[0:1]
	s_waitcnt vmcnt(5)
	v_mul_f64 v[0:1], v[234:235], v[136:137]
	v_fma_f64 v[84:85], v[36:37], v[176:177], -v[44:45]
	v_fmac_f64_e32 v[80:81], v[38:39], v[176:177]
	v_fma_f64 v[36:37], v[232:233], v[134:135], -v[0:1]
	v_mul_f64 v[38:39], v[232:233], v[136:137]
	buffer_store_dword v134, off, s[36:39], 0 offset:812 ; 4-byte Folded Spill
	s_nop 0
	buffer_store_dword v135, off, s[36:39], 0 offset:816 ; 4-byte Folded Spill
	buffer_store_dword v136, off, s[36:39], 0 offset:820 ; 4-byte Folded Spill
	;; [unrolled: 1-line block ×3, first 2 shown]
	v_mul_f64 v[48:49], v[42:43], v[170:171]
	v_mul_f64 v[76:77], v[40:41], v[170:171]
	s_waitcnt vmcnt(8)
	v_mul_f64 v[0:1], v[222:223], v[132:133]
	v_fma_f64 v[82:83], v[28:29], v[172:173], -v[46:47]
	v_fma_f64 v[28:29], v[40:41], v[168:169], -v[48:49]
	v_fmac_f64_e32 v[76:77], v[42:43], v[168:169]
	v_fma_f64 v[40:41], v[220:221], v[130:131], -v[0:1]
	v_mul_f64 v[42:43], v[220:221], v[132:133]
	buffer_store_dword v130, off, s[36:39], 0 offset:796 ; 4-byte Folded Spill
	s_nop 0
	buffer_store_dword v131, off, s[36:39], 0 offset:800 ; 4-byte Folded Spill
	buffer_store_dword v132, off, s[36:39], 0 offset:804 ; 4-byte Folded Spill
	;; [unrolled: 1-line block ×3, first 2 shown]
	s_waitcnt vmcnt(10)
	v_mul_f64 v[0:1], v[242:243], v[128:129]
	v_fma_f64 v[44:45], v[240:241], v[126:127], -v[0:1]
	v_mul_f64 v[46:47], v[240:241], v[128:129]
	buffer_store_dword v126, off, s[36:39], 0 offset:780 ; 4-byte Folded Spill
	s_nop 0
	buffer_store_dword v127, off, s[36:39], 0 offset:784 ; 4-byte Folded Spill
	buffer_store_dword v128, off, s[36:39], 0 offset:788 ; 4-byte Folded Spill
	buffer_store_dword v129, off, s[36:39], 0 offset:792 ; 4-byte Folded Spill
	v_mul_f64 v[0:1], v[246:247], v[124:125]
	v_fma_f64 v[48:49], v[244:245], v[122:123], -v[0:1]
	v_mul_f64 v[50:51], v[244:245], v[124:125]
	buffer_store_dword v122, off, s[36:39], 0 offset:764 ; 4-byte Folded Spill
	s_nop 0
	buffer_store_dword v123, off, s[36:39], 0 offset:768 ; 4-byte Folded Spill
	buffer_store_dword v124, off, s[36:39], 0 offset:772 ; 4-byte Folded Spill
	;; [unrolled: 1-line block ×3, first 2 shown]
	s_waitcnt vmcnt(16)
	v_mul_f64 v[0:1], v[214:215], v[140:141]
	v_mul_f64 v[92:93], v[52:53], v[150:151]
	v_fma_f64 v[52:53], v[212:213], v[138:139], -v[0:1]
	v_fmac_f64_e32 v[92:93], v[54:55], v[148:149]
	v_add_f64 v[8:9], v[98:99], v[108:109]
	v_mul_f64 v[86:87], v[24:25], v[186:187]
	v_mul_f64 v[60:61], v[16:17], v[202:203]
	v_fmac_f64_e32 v[64:65], v[10:11], v[196:197]
	v_fmac_f64_e32 v[72:73], v[2:3], v[188:189]
	v_add_f64 v[2:3], v[90:91], v[106:107]
	v_add_f64 v[10:11], v[92:93], v[104:105]
	v_add_f64 v[12:13], v[98:99], -v[108:109]
	v_add_f64 v[16:17], v[100:101], v[102:103]
	v_add_f64 v[20:21], v[102:103], -v[100:101]
	v_fmac_f64_e32 v[112:113], v[22:23], v[164:165]
	v_fmac_f64_e32 v[86:87], v[26:27], v[184:185]
	;; [unrolled: 1-line block ×4, first 2 shown]
	v_add_f64 v[4:5], v[118:119], -v[110:111]
	v_add_f64 v[14:15], v[92:93], -v[104:105]
	v_add_f64 v[18:19], v[94:95], v[96:97]
	v_add_f64 v[22:23], v[96:97], -v[94:95]
	v_add_f64 v[26:27], v[10:11], v[2:3]
	v_fmac_f64_e32 v[68:69], v[6:7], v[192:193]
	v_add_f64 v[6:7], v[90:91], -v[106:107]
	v_add_f64 v[90:91], v[10:11], -v[2:3]
	v_add_f64 v[94:95], v[2:3], -v[18:19]
	v_add_f64 v[10:11], v[18:19], -v[10:11]
	v_add_f64 v[2:3], v[22:23], v[14:15]
	v_add_f64 v[96:97], v[20:21], -v[12:13]
	v_add_f64 v[18:19], v[18:19], v[26:27]
	v_add_f64 v[98:99], v[22:23], -v[14:15]
	v_add_f64 v[22:23], v[6:7], -v[22:23]
	;; [unrolled: 1-line block ×3, first 2 shown]
	v_add_f64 v[6:7], v[2:3], v[6:7]
	v_add_f64 v[2:3], v[238:239], v[18:19]
	v_mul_f64 v[26:27], v[94:95], s[22:23]
	v_mul_f64 v[94:95], v[10:11], s[14:15]
	;; [unrolled: 1-line block ×6, first 2 shown]
	v_fmac_f64_e32 v[248:249], v[250:251], v[204:205]
	v_mul_f64 v[54:55], v[212:213], v[140:141]
	v_fmac_f64_e32 v[54:55], v[214:215], v[138:139]
	v_fmac_f64_e32 v[38:39], v[234:235], v[134:135]
	v_accvgpr_read_b32 v134, a138
	v_accvgpr_read_b32 v136, a140
	;; [unrolled: 1-line block ×4, first 2 shown]
	v_mul_f64 v[0:1], v[34:35], v[136:137]
	v_fma_f64 v[56:57], v[32:33], v[134:135], -v[0:1]
	v_add_f64 v[0:1], v[118:119], v[110:111]
	v_mul_f64 v[32:33], v[32:33], v[136:137]
	v_add_f64 v[24:25], v[8:9], v[0:1]
	v_fmac_f64_e32 v[32:33], v[34:35], v[134:135]
	v_add_f64 v[34:35], v[8:9], -v[0:1]
	v_add_f64 v[92:93], v[0:1], -v[16:17]
	v_add_f64 v[8:9], v[16:17], -v[8:9]
	v_add_f64 v[0:1], v[20:21], v[12:13]
	v_add_f64 v[16:17], v[16:17], v[24:25]
	v_add_f64 v[20:21], v[4:5], -v[20:21]
	v_add_f64 v[12:13], v[12:13], -v[4:5]
	v_add_f64 v[4:5], v[0:1], v[4:5]
	v_add_f64 v[0:1], v[236:237], v[16:17]
	v_pk_mov_b32 v[104:105], v[0:1], v[0:1] op_sel:[0,1]
	v_mul_f64 v[24:25], v[92:93], s[22:23]
	v_mul_f64 v[92:93], v[8:9], s[14:15]
	;; [unrolled: 1-line block ×3, first 2 shown]
	v_fmac_f64_e32 v[104:105], s[24:25], v[16:17]
	v_pk_mov_b32 v[16:17], v[2:3], v[2:3] op_sel:[0,1]
	v_fmac_f64_e32 v[16:17], s[24:25], v[18:19]
	v_fma_f64 v[18:19], v[34:35], s[6:7], -v[92:93]
	v_fma_f64 v[92:93], v[90:91], s[6:7], -v[94:95]
	;; [unrolled: 1-line block ×3, first 2 shown]
	v_fmac_f64_e32 v[24:25], s[14:15], v[8:9]
	v_fma_f64 v[8:9], v[90:91], s[18:19], -v[26:27]
	v_fma_f64 v[90:91], v[12:13], s[4:5], -v[96:97]
	v_fmac_f64_e32 v[96:97], s[26:27], v[20:21]
	v_fma_f64 v[100:101], v[20:21], s[28:29], -v[100:101]
	v_fma_f64 v[20:21], v[22:23], s[28:29], -v[102:103]
	v_fma_f64 v[94:95], v[14:15], s[4:5], -v[98:99]
	v_add_f64 v[34:35], v[34:35], v[104:105]
	v_fmac_f64_e32 v[20:21], s[20:21], v[6:7]
	v_fmac_f64_e32 v[26:27], s[14:15], v[10:11]
	;; [unrolled: 1-line block ×3, first 2 shown]
	v_add_f64 v[18:19], v[18:19], v[104:105]
	v_add_f64 v[22:23], v[92:93], v[16:17]
	;; [unrolled: 1-line block ×3, first 2 shown]
	v_fmac_f64_e32 v[90:91], s[20:21], v[4:5]
	v_fmac_f64_e32 v[94:95], s[20:21], v[6:7]
	;; [unrolled: 1-line block ×3, first 2 shown]
	v_add_f64 v[8:9], v[20:21], v[34:35]
	v_add_f64 v[20:21], v[34:35], -v[20:21]
	v_add_f64 v[34:35], v[84:85], v[88:89]
	v_add_f64 v[84:85], v[84:85], -v[88:89]
	v_add_f64 v[88:89], v[82:83], v[114:115]
	v_add_f64 v[26:27], v[26:27], v[16:17]
	v_fmac_f64_e32 v[96:97], s[20:21], v[4:5]
	v_add_f64 v[10:11], v[92:93], -v[100:101]
	v_add_f64 v[12:13], v[18:19], -v[94:95]
	v_add_f64 v[14:15], v[90:91], v[22:23]
	v_add_f64 v[16:17], v[94:95], v[18:19]
	v_add_f64 v[18:19], v[22:23], -v[90:91]
	v_add_f64 v[22:23], v[100:101], v[92:93]
	v_add_f64 v[90:91], v[80:81], v[120:121]
	;; [unrolled: 1-line block ×3, first 2 shown]
	v_add_f64 v[78:79], v[78:79], -v[86:87]
	v_add_f64 v[86:87], v[28:29], v[30:31]
	v_add_f64 v[94:95], v[76:77], v[112:113]
	v_add_f64 v[28:29], v[30:31], -v[28:29]
	v_add_f64 v[30:31], v[112:113], -v[76:77]
	v_add_f64 v[76:77], v[88:89], v[34:35]
	v_add_f64 v[24:25], v[24:25], v[104:105]
	v_fmac_f64_e32 v[98:99], s[20:21], v[6:7]
	v_add_f64 v[6:7], v[26:27], -v[96:97]
	v_add_f64 v[26:27], v[96:97], v[26:27]
	v_add_f64 v[82:83], v[82:83], -v[114:115]
	v_add_f64 v[96:97], v[92:93], v[90:91]
	v_add_f64 v[76:77], v[86:87], v[76:77]
	;; [unrolled: 1-line block ×3, first 2 shown]
	v_add_f64 v[24:25], v[24:25], -v[98:99]
	v_add_f64 v[80:81], v[80:81], -v[120:121]
	v_add_f64 v[98:99], v[88:89], -v[34:35]
	v_add_f64 v[34:35], v[34:35], -v[86:87]
	v_add_f64 v[88:89], v[86:87], -v[88:89]
	v_add_f64 v[102:103], v[28:29], v[82:83]
	v_add_f64 v[106:107], v[28:29], -v[82:83]
	v_add_f64 v[110:111], v[84:85], -v[28:29]
	v_add_f64 v[86:87], v[94:95], v[96:97]
	v_add_f64 v[28:29], v[228:229], v[76:77]
	v_add_f64 v[100:101], v[92:93], -v[90:91]
	v_add_f64 v[92:93], v[94:95], -v[92:93]
	v_add_f64 v[104:105], v[30:31], v[78:79]
	v_add_f64 v[108:109], v[30:31], -v[78:79]
	v_add_f64 v[112:113], v[80:81], -v[30:31]
	v_add_f64 v[30:31], v[230:231], v[86:87]
	v_pk_mov_b32 v[114:115], v[28:29], v[28:29] op_sel:[0,1]
	v_add_f64 v[90:91], v[90:91], -v[94:95]
	v_add_f64 v[82:83], v[82:83], -v[84:85]
	;; [unrolled: 1-line block ×3, first 2 shown]
	v_add_f64 v[80:81], v[104:105], v[80:81]
	v_mul_f64 v[34:35], v[34:35], s[22:23]
	v_mul_f64 v[94:95], v[88:89], s[14:15]
	;; [unrolled: 1-line block ×4, first 2 shown]
	v_fmac_f64_e32 v[114:115], s[24:25], v[76:77]
	v_pk_mov_b32 v[76:77], v[30:31], v[30:31] op_sel:[0,1]
	v_add_f64 v[84:85], v[102:103], v[84:85]
	v_mul_f64 v[90:91], v[90:91], s[22:23]
	v_mul_f64 v[102:103], v[106:107], s[16:17]
	;; [unrolled: 1-line block ×4, first 2 shown]
	v_fmac_f64_e32 v[76:77], s[24:25], v[86:87]
	v_fma_f64 v[86:87], v[98:99], s[6:7], -v[94:95]
	v_fma_f64 v[94:95], v[100:101], s[6:7], -v[96:97]
	;; [unrolled: 1-line block ×3, first 2 shown]
	v_fmac_f64_e32 v[34:35], s[14:15], v[88:89]
	v_fma_f64 v[78:79], v[78:79], s[4:5], -v[104:105]
	v_fmac_f64_e32 v[104:105], s[26:27], v[112:113]
	v_fma_f64 v[88:89], v[100:101], s[18:19], -v[90:91]
	;; [unrolled: 2-line block ×3, first 2 shown]
	v_add_f64 v[34:35], v[34:35], v[114:115]
	v_add_f64 v[86:87], v[86:87], v[114:115]
	v_fmac_f64_e32 v[104:105], s[20:21], v[80:81]
	v_fmac_f64_e32 v[78:79], s[20:21], v[80:81]
	v_fma_f64 v[82:83], v[82:83], s[4:5], -v[102:103]
	v_fma_f64 v[98:99], v[112:113], s[28:29], -v[108:109]
	v_add_f64 v[90:91], v[90:91], v[76:77]
	v_add_f64 v[94:95], v[94:95], v[76:77]
	;; [unrolled: 1-line block ×3, first 2 shown]
	v_fmac_f64_e32 v[92:93], s[20:21], v[84:85]
	v_add_f64 v[212:213], v[104:105], v[34:35]
	v_add_f64 v[228:229], v[86:87], -v[78:79]
	v_add_f64 v[232:233], v[78:79], v[86:87]
	v_add_f64 v[240:241], v[34:35], -v[104:105]
	v_add_f64 v[34:35], v[58:59], v[254:255]
	v_add_f64 v[78:79], v[62:63], v[74:75]
	v_fmac_f64_e32 v[42:43], v[222:223], v[130:131]
	v_fmac_f64_e32 v[82:83], s[20:21], v[84:85]
	;; [unrolled: 1-line block ×3, first 2 shown]
	v_add_f64 v[222:223], v[76:77], -v[92:93]
	v_add_f64 v[238:239], v[92:93], v[76:77]
	v_add_f64 v[76:77], v[60:61], v[248:249]
	;; [unrolled: 1-line block ×3, first 2 shown]
	v_add_f64 v[62:63], v[62:63], -v[74:75]
	v_add_f64 v[74:75], v[66:67], v[70:71]
	v_add_f64 v[66:67], v[70:71], -v[66:67]
	v_add_f64 v[70:71], v[78:79], v[34:35]
	v_add_f64 v[230:231], v[82:83], v[94:95]
	v_add_f64 v[234:235], v[94:95], -v[82:83]
	v_add_f64 v[64:65], v[64:65], -v[252:253]
	v_add_f64 v[82:83], v[68:69], v[72:73]
	v_add_f64 v[68:69], v[72:73], -v[68:69]
	v_add_f64 v[72:73], v[80:81], v[76:77]
	v_add_f64 v[70:71], v[74:75], v[70:71]
	v_fmac_f64_e32 v[102:103], s[26:27], v[110:111]
	v_add_f64 v[96:97], v[96:97], v[114:115]
	v_add_f64 v[94:95], v[68:69], -v[64:65]
	v_add_f64 v[72:73], v[82:83], v[72:73]
	v_add_f64 v[224:225], v[224:225], v[70:71]
	v_fmac_f64_e32 v[102:103], s[20:21], v[84:85]
	v_add_f64 v[220:221], v[98:99], v[96:97]
	v_add_f64 v[236:237], v[96:97], -v[98:99]
	v_add_f64 v[58:59], v[58:59], -v[254:255]
	;; [unrolled: 1-line block ×8, first 2 shown]
	v_add_f64 v[88:89], v[66:67], v[62:63]
	v_add_f64 v[92:93], v[66:67], -v[62:63]
	v_add_f64 v[226:227], v[226:227], v[72:73]
	v_mul_f64 v[98:99], v[94:95], s[16:17]
	v_pk_mov_b32 v[94:95], v[224:225], v[224:225] op_sel:[0,1]
	v_fmac_f64_e32 v[46:47], v[242:243], v[126:127]
	v_add_f64 v[214:215], v[90:91], -v[102:103]
	v_add_f64 v[242:243], v[102:103], v[90:91]
	v_add_f64 v[34:35], v[34:35], -v[74:75]
	v_add_f64 v[90:91], v[68:69], v[64:65]
	v_add_f64 v[66:67], v[58:59], -v[66:67]
	v_add_f64 v[62:63], v[62:63], -v[58:59]
	;; [unrolled: 1-line block ×3, first 2 shown]
	v_add_f64 v[58:59], v[88:89], v[58:59]
	v_mul_f64 v[74:75], v[76:77], s[22:23]
	v_mul_f64 v[76:77], v[78:79], s[14:15]
	;; [unrolled: 1-line block ×4, first 2 shown]
	v_fmac_f64_e32 v[94:95], s[24:25], v[70:71]
	v_pk_mov_b32 v[70:71], v[226:227], v[226:227] op_sel:[0,1]
	v_add_f64 v[68:69], v[60:61], -v[68:69]
	v_add_f64 v[60:61], v[90:91], v[60:61]
	v_mul_f64 v[34:35], v[34:35], s[22:23]
	v_mul_f64 v[90:91], v[62:63], s[4:5]
	;; [unrolled: 1-line block ×3, first 2 shown]
	v_fmac_f64_e32 v[70:71], s[24:25], v[72:73]
	v_fma_f64 v[72:73], v[84:85], s[6:7], -v[76:77]
	v_fma_f64 v[76:77], v[86:87], s[6:7], -v[82:83]
	v_fma_f64 v[62:63], v[62:63], s[4:5], -v[88:89]
	v_fma_f64 v[64:65], v[64:65], s[4:5], -v[98:99]
	v_fma_f64 v[82:83], v[84:85], s[18:19], -v[34:35]
	v_fmac_f64_e32 v[34:35], s[14:15], v[78:79]
	v_fma_f64 v[78:79], v[86:87], s[18:19], -v[74:75]
	v_fmac_f64_e32 v[74:75], s[14:15], v[80:81]
	v_fmac_f64_e32 v[88:89], s[26:27], v[66:67]
	v_fmac_f64_e32 v[98:99], s[26:27], v[68:69]
	v_fma_f64 v[66:67], v[66:67], s[28:29], -v[90:91]
	v_fma_f64 v[68:69], v[68:69], s[28:29], -v[92:93]
	v_add_f64 v[72:73], v[72:73], v[94:95]
	v_add_f64 v[76:77], v[76:77], v[70:71]
	v_fmac_f64_e32 v[62:63], s[20:21], v[58:59]
	v_fmac_f64_e32 v[64:65], s[20:21], v[60:61]
	v_fmac_f64_e32 v[50:51], v[246:247], v[122:123]
	v_add_f64 v[34:35], v[34:35], v[94:95]
	v_add_f64 v[74:75], v[74:75], v[70:71]
	;; [unrolled: 1-line block ×3, first 2 shown]
	v_fmac_f64_e32 v[88:89], s[20:21], v[58:59]
	v_fmac_f64_e32 v[98:99], s[20:21], v[60:61]
	;; [unrolled: 1-line block ×4, first 2 shown]
	v_add_f64 v[252:253], v[72:73], -v[64:65]
	v_add_f64 v[254:255], v[62:63], v[76:77]
	v_add_f64 v[90:91], v[64:65], v[72:73]
	v_add_f64 v[92:93], v[76:77], -v[62:63]
	v_add_f64 v[58:59], v[36:37], v[56:57]
	v_add_f64 v[60:61], v[38:39], v[32:33]
	;; [unrolled: 3-line block ×3, first 2 shown]
	v_add_f64 v[244:245], v[98:99], v[34:35]
	v_add_f64 v[250:251], v[70:71], -v[66:67]
	v_add_f64 v[96:97], v[66:67], v[70:71]
	v_add_f64 v[104:105], v[34:35], -v[98:99]
	v_add_f64 v[36:37], v[38:39], -v[32:33]
	;; [unrolled: 1-line block ×4, first 2 shown]
	v_add_f64 v[32:33], v[44:45], v[48:49]
	v_add_f64 v[34:35], v[46:47], v[50:51]
	v_add_f64 v[38:39], v[48:49], -v[44:45]
	v_add_f64 v[40:41], v[50:51], -v[46:47]
	v_add_f64 v[42:43], v[56:57], v[58:59]
	v_add_f64 v[44:45], v[62:63], v[60:61]
	;; [unrolled: 1-line block ×3, first 2 shown]
	v_add_f64 v[246:247], v[74:75], -v[88:89]
	v_add_f64 v[106:107], v[88:89], v[74:75]
	v_add_f64 v[46:47], v[58:59], -v[32:33]
	v_add_f64 v[48:49], v[60:61], -v[34:35]
	v_add_f64 v[50:51], v[38:39], v[66:67]
	v_add_f64 v[54:55], v[40:41], v[52:53]
	v_add_f64 v[72:73], v[38:39], -v[66:67]
	v_add_f64 v[74:75], v[40:41], -v[52:53]
	;; [unrolled: 1-line block ×4, first 2 shown]
	v_add_f64 v[42:43], v[32:33], v[42:43]
	v_add_f64 v[44:45], v[34:35], v[44:45]
	;; [unrolled: 1-line block ×3, first 2 shown]
	v_add_f64 v[94:95], v[80:81], -v[68:69]
	v_add_f64 v[68:69], v[32:33], -v[56:57]
	;; [unrolled: 1-line block ×3, first 2 shown]
	v_add_f64 v[80:81], v[50:51], v[64:65]
	v_add_f64 v[82:83], v[54:55], v[36:37]
	;; [unrolled: 1-line block ×4, first 2 shown]
	v_mul_f64 v[50:51], v[46:47], s[22:23]
	v_mul_f64 v[76:77], v[48:49], s[22:23]
	;; [unrolled: 1-line block ×4, first 2 shown]
	v_fma_f64 v[46:47], s[24:25], v[42:43], v[32:33]
	v_fma_f64 v[48:49], s[24:25], v[44:45], v[34:35]
	v_fma_f64 v[40:41], s[14:15], v[68:69], v[50:51]
	v_fma_f64 v[44:45], s[14:15], v[70:71], v[76:77]
	v_fma_f64 v[42:43], s[16:17], v[72:73], v[78:79]
	v_fma_f64 v[38:39], s[16:17], v[74:75], v[54:55]
	v_accvgpr_write_b32 a138, v138
	v_add_f64 v[40:41], v[40:41], v[46:47]
	v_add_f64 v[44:45], v[44:45], v[48:49]
	v_fmac_f64_e32 v[42:43], s[20:21], v[80:81]
	v_fmac_f64_e32 v[38:39], s[20:21], v[82:83]
	v_accvgpr_write_b32 a139, v139
	v_accvgpr_write_b32 a140, v140
	;; [unrolled: 1-line block ×3, first 2 shown]
	v_add_f64 v[138:139], v[40:41], -v[38:39]
	v_add_f64 v[140:141], v[42:43], v[44:45]
	ds_write_b128 v116, v[0:3]
	ds_write_b128 v116, v[4:7] offset:3888
	ds_write_b128 v116, v[8:11] offset:7776
	;; [unrolled: 1-line block ×20, first 2 shown]
	s_and_saveexec_b64 s[22:23], s[0:1]
	s_cbranch_execz .LBB0_5
; %bb.4:
	v_mul_f64 v[4:5], v[68:69], s[14:15]
	v_mul_f64 v[6:7], v[70:71], s[14:15]
	v_add_f64 v[16:17], v[66:67], -v[64:65]
	s_mov_b32 s15, 0xbfebfeb5
	s_mov_b32 s14, s4
	v_mul_f64 v[8:9], v[80:81], s[20:21]
	v_fma_f64 v[0:1], v[16:17], s[14:15], -v[78:79]
	v_add_f64 v[20:21], v[62:63], -v[60:61]
	v_add_f64 v[18:19], v[8:9], v[0:1]
	v_fma_f64 v[0:1], v[20:21], s[18:19], -v[76:77]
	v_add_f64 v[24:25], v[56:57], -v[58:59]
	v_mul_f64 v[12:13], v[72:73], s[16:17]
	v_mul_f64 v[14:15], v[74:75], s[16:17]
	v_add_f64 v[22:23], v[0:1], v[48:49]
	v_fma_f64 v[0:1], v[24:25], s[18:19], -v[50:51]
	v_add_f64 v[28:29], v[52:53], -v[36:37]
	v_fma_f64 v[6:7], v[20:21], s[6:7], -v[6:7]
	v_fma_f64 v[4:5], v[24:25], s[6:7], -v[4:5]
	v_mul_f64 v[10:11], v[82:83], s[20:21]
	v_add_f64 v[26:27], v[0:1], v[46:47]
	v_fma_f64 v[0:1], v[28:29], s[14:15], -v[54:55]
	v_add_f64 v[20:21], v[6:7], v[48:49]
	v_fma_f64 v[6:7], v[16:17], s[4:5], -v[12:13]
	;; [unrolled: 2-line block ×3, first 2 shown]
	v_add_f64 v[30:31], v[10:11], v[0:1]
	v_add_f64 v[8:9], v[8:9], v[6:7]
	;; [unrolled: 1-line block ×4, first 2 shown]
	v_add_f64 v[0:1], v[26:27], -v[30:31]
	v_add_f64 v[6:7], v[20:21], -v[8:9]
	v_add_f64 v[4:5], v[14:15], v[12:13]
	v_add_f64 v[10:11], v[8:9], v[20:21]
	v_add_f64 v[8:9], v[12:13], -v[14:15]
	v_add_f64 v[14:15], v[22:23], -v[18:19]
	v_add_f64 v[12:13], v[30:31], v[26:27]
	v_add_f64 v[18:19], v[44:45], -v[42:43]
	v_add_f64 v[16:17], v[38:39], v[40:41]
	ds_write_b128 v116, v[32:35] offset:3024
	ds_write_b128 v116, v[16:19] offset:6912
	;; [unrolled: 1-line block ×7, first 2 shown]
.LBB0_5:
	s_or_b64 exec, exec, s[22:23]
	v_accvgpr_read_b32 v0, a44
	v_lshlrev_b32_e32 v0, 4, v0
	v_add_co_u32_e32 v4, vcc, s12, v0
	v_mov_b32_e32 v0, s13
	v_addc_co_u32_e32 v5, vcc, 0, v0, vcc
	s_movk_i32 s4, 0x6a50
	v_add_co_u32_e32 v2, vcc, s4, v4
	v_addc_co_u32_e32 v3, vcc, 0, v5, vcc
	s_movk_i32 s4, 0x6000
	v_add_co_u32_e32 v0, vcc, s4, v4
	v_addc_co_u32_e32 v1, vcc, 0, v5, vcc
	s_waitcnt lgkmcnt(0)
	; wave barrier
	s_waitcnt lgkmcnt(0)
	global_load_dwordx4 v[10:13], v[0:1], off offset:2640
	ds_read_b128 v[6:9], v116
	ds_read_b128 v[212:215], v116 offset:8064
	s_mov_b32 s4, 0x8000
	s_mov_b32 s7, 0x3febb67a
	s_waitcnt vmcnt(0) lgkmcnt(1)
	v_mul_f64 v[0:1], v[8:9], v[12:13]
	v_fma_f64 v[14:15], v[6:7], v[10:11], -v[0:1]
	v_add_co_u32_e32 v0, vcc, s4, v4
	v_mul_f64 v[16:17], v[6:7], v[12:13]
	v_addc_co_u32_e32 v1, vcc, 0, v5, vcc
	v_fmac_f64_e32 v[16:17], v[8:9], v[10:11]
	global_load_dwordx4 v[10:13], v[0:1], off offset:3520
	ds_read_b128 v[6:9], v116 offset:9072
	s_mov_b32 s4, 0xb000
	v_add_co_u32_e32 v18, vcc, s4, v4
	ds_write_b128 v116, v[14:17]
	v_addc_co_u32_e32 v19, vcc, 0, v5, vcc
	s_mov_b32 s4, 0x9000
	v_add_co_u32_e32 v20, vcc, s4, v4
	v_addc_co_u32_e32 v21, vcc, 0, v5, vcc
	s_mov_b32 s4, 0xc000
	s_waitcnt vmcnt(0) lgkmcnt(1)
	v_mul_f64 v[14:15], v[8:9], v[12:13]
	v_mul_f64 v[16:17], v[6:7], v[12:13]
	v_fma_f64 v[14:15], v[6:7], v[10:11], -v[14:15]
	v_fmac_f64_e32 v[16:17], v[8:9], v[10:11]
	global_load_dwordx4 v[10:13], v[18:19], off offset:304
	ds_read_b128 v[6:9], v116 offset:18144
	ds_write_b128 v116, v[14:17] offset:9072
	s_waitcnt vmcnt(0) lgkmcnt(1)
	v_mul_f64 v[14:15], v[8:9], v[12:13]
	v_mul_f64 v[16:17], v[6:7], v[12:13]
	v_fma_f64 v[14:15], v[6:7], v[10:11], -v[14:15]
	v_fmac_f64_e32 v[16:17], v[8:9], v[10:11]
	global_load_dwordx4 v[10:13], v[2:3], off offset:1008
	ds_read_b128 v[6:9], v116 offset:1008
	ds_write_b128 v116, v[14:17] offset:18144
	;; [unrolled: 8-line block ×10, first 2 shown]
	v_add_co_u32_e32 v18, vcc, s4, v4
	v_addc_co_u32_e32 v19, vcc, 0, v5, vcc
	s_movk_i32 s4, 0x7000
	s_waitcnt vmcnt(0) lgkmcnt(1)
	v_mul_f64 v[14:15], v[8:9], v[12:13]
	v_mul_f64 v[16:17], v[6:7], v[12:13]
	v_fma_f64 v[14:15], v[6:7], v[10:11], -v[14:15]
	v_fmac_f64_e32 v[16:17], v[8:9], v[10:11]
	global_load_dwordx4 v[10:13], v[2:3], off offset:4032
	ds_read_b128 v[6:9], v116 offset:4032
	ds_write_b128 v116, v[14:17] offset:21168
	s_waitcnt vmcnt(0) lgkmcnt(1)
	v_mul_f64 v[2:3], v[8:9], v[12:13]
	v_mul_f64 v[16:17], v[6:7], v[12:13]
	v_fma_f64 v[14:15], v[6:7], v[10:11], -v[2:3]
	v_fmac_f64_e32 v[16:17], v[8:9], v[10:11]
	global_load_dwordx4 v[10:13], v[20:21], off offset:3456
	ds_read_b128 v[6:9], v116 offset:13104
	ds_write_b128 v116, v[14:17] offset:4032
	;; [unrolled: 8-line block ×3, first 2 shown]
	s_waitcnt vmcnt(0) lgkmcnt(1)
	v_mul_f64 v[2:3], v[8:9], v[12:13]
	v_fma_f64 v[14:15], v[6:7], v[10:11], -v[2:3]
	v_add_co_u32_e32 v2, vcc, s4, v4
	v_mul_f64 v[16:17], v[6:7], v[12:13]
	v_addc_co_u32_e32 v3, vcc, 0, v5, vcc
	v_fmac_f64_e32 v[16:17], v[8:9], v[10:11]
	global_load_dwordx4 v[10:13], v[2:3], off offset:3584
	ds_read_b128 v[6:9], v116 offset:5040
	s_mov_b32 s4, 0xa000
	ds_write_b128 v116, v[14:17] offset:22176
	s_waitcnt vmcnt(0) lgkmcnt(1)
	v_mul_f64 v[2:3], v[8:9], v[12:13]
	v_fma_f64 v[14:15], v[6:7], v[10:11], -v[2:3]
	v_add_co_u32_e32 v2, vcc, s4, v4
	v_mul_f64 v[16:17], v[6:7], v[12:13]
	v_addc_co_u32_e32 v3, vcc, 0, v5, vcc
	v_fmac_f64_e32 v[16:17], v[8:9], v[10:11]
	global_load_dwordx4 v[10:13], v[2:3], off offset:368
	ds_read_b128 v[6:9], v116 offset:14112
	ds_write_b128 v116, v[14:17] offset:5040
	s_mov_b32 s4, 0xd000
	v_add_co_u32_e32 v4, vcc, s4, v4
	v_addc_co_u32_e32 v5, vcc, 0, v5, vcc
	s_mov_b32 s4, 0xe8584caa
	s_mov_b32 s5, 0xbfebb67a
	;; [unrolled: 1-line block ×3, first 2 shown]
	s_waitcnt vmcnt(0) lgkmcnt(1)
	v_mul_f64 v[14:15], v[8:9], v[12:13]
	v_mul_f64 v[16:17], v[6:7], v[12:13]
	v_fma_f64 v[14:15], v[6:7], v[10:11], -v[14:15]
	v_fmac_f64_e32 v[16:17], v[8:9], v[10:11]
	global_load_dwordx4 v[10:13], v[18:19], off offset:1248
	ds_read_b128 v[6:9], v116 offset:23184
	ds_write_b128 v116, v[14:17] offset:14112
	s_waitcnt vmcnt(0) lgkmcnt(1)
	v_mul_f64 v[14:15], v[8:9], v[12:13]
	v_mul_f64 v[16:17], v[6:7], v[12:13]
	v_fma_f64 v[14:15], v[6:7], v[10:11], -v[14:15]
	v_fmac_f64_e32 v[16:17], v[8:9], v[10:11]
	global_load_dwordx4 v[10:13], v[0:1], off offset:496
	ds_read_b128 v[6:9], v116 offset:6048
	ds_write_b128 v116, v[14:17] offset:23184
	;; [unrolled: 8-line block ×7, first 2 shown]
	s_waitcnt vmcnt(0) lgkmcnt(1)
	v_mul_f64 v[14:15], v[8:9], v[12:13]
	v_mul_f64 v[16:17], v[6:7], v[12:13]
	v_fma_f64 v[14:15], v[6:7], v[10:11], -v[14:15]
	v_fmac_f64_e32 v[16:17], v[8:9], v[10:11]
	global_load_dwordx4 v[6:9], v[0:1], off offset:2512
	ds_write_b128 v116, v[14:17] offset:25200
	s_waitcnt vmcnt(0)
	v_mul_f64 v[0:1], v[214:215], v[8:9]
	v_fma_f64 v[10:11], v[212:213], v[6:7], -v[0:1]
	global_load_dwordx4 v[0:3], v[2:3], off offset:3392
	v_mul_f64 v[12:13], v[212:213], v[8:9]
	v_fmac_f64_e32 v[12:13], v[214:215], v[6:7]
	ds_read_b128 v[6:9], v116 offset:17136
	ds_write_b128 v116, v[10:13] offset:8064
	s_waitcnt vmcnt(0) lgkmcnt(1)
	v_mul_f64 v[10:11], v[8:9], v[2:3]
	v_fma_f64 v[10:11], v[6:7], v[0:1], -v[10:11]
	v_mul_f64 v[12:13], v[6:7], v[2:3]
	global_load_dwordx4 v[4:7], v[4:5], off offset:176
	v_fmac_f64_e32 v[12:13], v[8:9], v[0:1]
	ds_read_b128 v[0:3], v116 offset:26208
	ds_write_b128 v116, v[10:13] offset:17136
	s_waitcnt vmcnt(0) lgkmcnt(1)
	v_mul_f64 v[8:9], v[2:3], v[6:7]
	v_mul_f64 v[10:11], v[0:1], v[6:7]
	v_fma_f64 v[8:9], v[0:1], v[4:5], -v[8:9]
	v_fmac_f64_e32 v[10:11], v[2:3], v[4:5]
	ds_write_b128 v116, v[8:11] offset:26208
	s_waitcnt lgkmcnt(0)
	; wave barrier
	s_waitcnt lgkmcnt(0)
	ds_read_b128 v[244:247], v116
	ds_read_b128 v[48:51], v116 offset:9072
	ds_read_b128 v[52:55], v116 offset:18144
	;; [unrolled: 1-line block ×26, first 2 shown]
	s_waitcnt lgkmcnt(14)
	v_add_f64 v[32:33], v[244:245], v[48:49]
	v_add_f64 v[36:37], v[32:33], v[52:53]
	v_add_f64 v[32:33], v[48:49], v[52:53]
	v_fmac_f64_e32 v[244:245], -0.5, v[32:33]
	v_add_f64 v[34:35], v[50:51], -v[54:55]
	v_fma_f64 v[32:33], s[4:5], v[34:35], v[244:245]
	v_fmac_f64_e32 v[244:245], s[6:7], v[34:35]
	v_add_f64 v[34:35], v[246:247], v[50:51]
	v_add_f64 v[38:39], v[34:35], v[54:55]
	v_add_f64 v[34:35], v[50:51], v[54:55]
	v_fmac_f64_e32 v[246:247], -0.5, v[34:35]
	v_add_f64 v[48:49], v[48:49], -v[52:53]
	v_fma_f64 v[34:35], s[6:7], v[48:49], v[246:247]
	v_fmac_f64_e32 v[246:247], s[4:5], v[48:49]
	;; [unrolled: 7-line block ×7, first 2 shown]
	v_add_f64 v[66:67], v[234:235], v[42:43]
	v_add_f64 v[42:43], v[42:43], v[46:47]
	v_fmac_f64_e32 v[234:235], -0.5, v[42:43]
	v_add_f64 v[40:41], v[40:41], -v[44:45]
	v_add_f64 v[70:71], v[66:67], v[46:47]
	v_fma_f64 v[66:67], s[6:7], v[40:41], v[234:235]
	v_fmac_f64_e32 v[234:235], s[4:5], v[40:41]
	s_waitcnt lgkmcnt(13)
	v_add_f64 v[40:41], v[228:229], v[24:25]
	s_waitcnt lgkmcnt(12)
	v_add_f64 v[44:45], v[40:41], v[28:29]
	v_add_f64 v[40:41], v[24:25], v[28:29]
	v_fmac_f64_e32 v[228:229], -0.5, v[40:41]
	v_add_f64 v[42:43], v[26:27], -v[30:31]
	v_fma_f64 v[40:41], s[4:5], v[42:43], v[228:229]
	v_fmac_f64_e32 v[228:229], s[6:7], v[42:43]
	v_add_f64 v[42:43], v[230:231], v[26:27]
	v_add_f64 v[26:27], v[26:27], v[30:31]
	v_fmac_f64_e32 v[230:231], -0.5, v[26:27]
	v_add_f64 v[24:25], v[24:25], -v[28:29]
	v_add_f64 v[46:47], v[42:43], v[30:31]
	v_fma_f64 v[42:43], s[6:7], v[24:25], v[230:231]
	v_fmac_f64_e32 v[230:231], s[4:5], v[24:25]
	s_waitcnt lgkmcnt(10)
	v_add_f64 v[24:25], v[224:225], v[16:17]
	s_waitcnt lgkmcnt(9)
	v_add_f64 v[28:29], v[24:25], v[20:21]
	v_add_f64 v[24:25], v[16:17], v[20:21]
	v_fmac_f64_e32 v[224:225], -0.5, v[24:25]
	v_add_f64 v[26:27], v[18:19], -v[22:23]
	v_fma_f64 v[24:25], s[4:5], v[26:27], v[224:225]
	v_fmac_f64_e32 v[224:225], s[6:7], v[26:27]
	;; [unrolled: 16-line block ×5, first 2 shown]
	v_add_f64 v[2:3], v[214:215], v[250:251]
	v_add_f64 v[6:7], v[2:3], v[254:255]
	v_add_f64 v[2:3], v[250:251], v[254:255]
	v_fmac_f64_e32 v[214:215], -0.5, v[2:3]
	v_add_f64 v[72:73], v[248:249], -v[252:253]
	v_fma_f64 v[2:3], s[6:7], v[72:73], v[214:215]
	v_fmac_f64_e32 v[214:215], s[4:5], v[72:73]
	s_waitcnt lgkmcnt(0)
	; wave barrier
	buffer_load_dword v72, off, s[36:39], 0 offset:756 ; 4-byte Folded Reload
	s_waitcnt vmcnt(0)
	ds_write_b128 v72, v[36:39]
	ds_write_b128 v72, v[32:35] offset:16
	ds_write_b128 v72, v[244:247] offset:32
	buffer_load_dword v32, off, s[36:39], 0 offset:748 ; 4-byte Folded Reload
	s_waitcnt vmcnt(0)
	ds_write_b128 v32, v[52:55]
	ds_write_b128 v32, v[48:51] offset:16
	ds_write_b128 v32, v[240:243] offset:32
	;; [unrolled: 5-line block ×8, first 2 shown]
	buffer_load_dword v8, off, s[36:39], 0 offset:632 ; 4-byte Folded Reload
	v_accvgpr_read_b32 v72, a204
	v_accvgpr_read_b32 v74, a206
	;; [unrolled: 1-line block ×3, first 2 shown]
	s_waitcnt vmcnt(0)
	ds_write_b128 v8, v[4:7]
	ds_write_b128 v8, v[0:3] offset:16
	ds_write_b128 v8, v[212:215] offset:32
	s_waitcnt lgkmcnt(0)
	; wave barrier
	s_waitcnt lgkmcnt(0)
	ds_read_b128 v[244:247], v116
	ds_read_b128 v[68:71], v116 offset:9072
	ds_read_b128 v[64:67], v116 offset:18144
	;; [unrolled: 1-line block ×26, first 2 shown]
	v_accvgpr_read_b32 v73, a205
	s_waitcnt lgkmcnt(14)
	v_mul_f64 v[76:77], v[74:75], v[70:71]
	v_fmac_f64_e32 v[76:77], v[72:73], v[68:69]
	v_mul_f64 v[68:69], v[74:75], v[68:69]
	v_fma_f64 v[68:69], v[72:73], v[70:71], -v[68:69]
	v_accvgpr_read_b32 v72, a192
	v_accvgpr_read_b32 v74, a194
	v_accvgpr_read_b32 v75, a195
	v_accvgpr_read_b32 v73, a193
	v_mul_f64 v[70:71], v[74:75], v[66:67]
	v_fmac_f64_e32 v[70:71], v[72:73], v[64:65]
	v_mul_f64 v[64:65], v[74:75], v[64:65]
	v_fma_f64 v[64:65], v[72:73], v[66:67], -v[64:65]
	v_accvgpr_read_b32 v72, a220
	v_accvgpr_read_b32 v74, a222
	v_accvgpr_read_b32 v75, a223
	v_accvgpr_read_b32 v73, a221
	;; [unrolled: 8-line block ×8, first 2 shown]
	s_waitcnt lgkmcnt(13)
	v_mul_f64 v[96:97], v[46:47], v[38:39]
	v_fmac_f64_e32 v[96:97], v[44:45], v[36:37]
	v_mul_f64 v[36:37], v[46:47], v[36:37]
	v_fma_f64 v[98:99], v[44:45], v[38:39], -v[36:37]
	v_accvgpr_read_b32 v36, a40
	v_accvgpr_read_b32 v38, a42
	v_accvgpr_read_b32 v39, a43
	v_accvgpr_read_b32 v37, a41
	s_waitcnt lgkmcnt(12)
	v_mul_f64 v[100:101], v[38:39], v[34:35]
	v_fmac_f64_e32 v[100:101], v[36:37], v[32:33]
	v_mul_f64 v[32:33], v[38:39], v[32:33]
	v_fma_f64 v[34:35], v[36:37], v[34:35], -v[32:33]
	v_accvgpr_read_b32 v36, a62
	v_accvgpr_read_b32 v38, a64
	v_accvgpr_read_b32 v39, a65
	v_accvgpr_read_b32 v37, a63
	;; [unrolled: 9-line block ×9, first 2 shown]
	s_waitcnt lgkmcnt(0)
	v_mul_f64 v[122:123], v[10:11], v[2:3]
	v_fmac_f64_e32 v[122:123], v[8:9], v[0:1]
	v_mul_f64 v[0:1], v[10:11], v[0:1]
	v_fma_f64 v[248:249], v[8:9], v[2:3], -v[0:1]
	v_add_f64 v[0:1], v[244:245], v[76:77]
	v_add_f64 v[72:73], v[0:1], v[70:71]
	v_add_f64 v[0:1], v[76:77], v[70:71]
	v_fmac_f64_e32 v[244:245], -0.5, v[0:1]
	v_add_f64 v[0:1], v[68:69], -v[64:65]
	v_fma_f64 v[60:61], s[4:5], v[0:1], v[244:245]
	v_fmac_f64_e32 v[244:245], s[6:7], v[0:1]
	v_add_f64 v[0:1], v[246:247], v[68:69]
	v_add_f64 v[74:75], v[0:1], v[64:65]
	v_add_f64 v[0:1], v[68:69], v[64:65]
	v_fmac_f64_e32 v[246:247], -0.5, v[0:1]
	v_add_f64 v[0:1], v[76:77], -v[70:71]
	v_fma_f64 v[62:63], s[6:7], v[0:1], v[246:247]
	v_fmac_f64_e32 v[246:247], s[4:5], v[0:1]
	;; [unrolled: 7-line block ×17, first 2 shown]
	v_add_f64 v[14:15], v[214:215], v[6:7]
	v_add_f64 v[6:7], v[6:7], v[248:249]
	v_fmac_f64_e32 v[214:215], -0.5, v[6:7]
	v_add_f64 v[68:69], v[120:121], -v[122:123]
	v_fma_f64 v[6:7], s[6:7], v[68:69], v[214:215]
	v_fmac_f64_e32 v[214:215], s[4:5], v[68:69]
	s_waitcnt lgkmcnt(0)
	; wave barrier
	buffer_load_dword v68, off, s[36:39], 0 offset:316 ; 4-byte Folded Reload
	s_waitcnt vmcnt(0)
	ds_write_b128 v68, v[72:75]
	ds_write_b128 v68, v[60:63] offset:48
	ds_write_b128 v68, v[244:247] offset:96
	buffer_load_dword v60, off, s[36:39], 0 offset:280 ; 4-byte Folded Reload
	s_waitcnt vmcnt(0)
	ds_write_b128 v60, v[64:67]
	ds_write_b128 v60, v[56:59] offset:48
	ds_write_b128 v60, v[240:243] offset:96
	;; [unrolled: 5-line block ×8, first 2 shown]
	buffer_load_dword v0, off, s[36:39], 0 offset:260 ; 4-byte Folded Reload
	v_add_f64 v[14:15], v[14:15], v[248:249]
	s_waitcnt vmcnt(0)
	ds_write_b128 v0, v[12:15]
	ds_write_b128 v0, v[4:7] offset:48
	ds_write_b128 v0, v[212:215] offset:96
	s_waitcnt lgkmcnt(0)
	; wave barrier
	s_waitcnt lgkmcnt(0)
	ds_read_b128 v[72:75], v116
	ds_read_b128 v[240:243], v116 offset:9072
	ds_read_b128 v[236:239], v116 offset:18144
	;; [unrolled: 1-line block ×26, first 2 shown]
	buffer_load_dword v80, off, s[36:39], 0 offset:712 ; 4-byte Folded Reload
	buffer_load_dword v81, off, s[36:39], 0 offset:716 ; 4-byte Folded Reload
	;; [unrolled: 1-line block ×8, first 2 shown]
	v_accvgpr_read_b32 v88, a172
	v_accvgpr_read_b32 v90, a174
	v_accvgpr_read_b32 v91, a175
	v_accvgpr_read_b32 v92, a188
	v_accvgpr_read_b32 v89, a173
	v_accvgpr_read_b32 v94, a190
	v_accvgpr_read_b32 v95, a191
	v_accvgpr_read_b32 v96, a200
	v_accvgpr_read_b32 v93, a189
	v_accvgpr_read_b32 v98, a202
	v_accvgpr_read_b32 v99, a203
	v_accvgpr_read_b32 v100, a216
	v_accvgpr_read_b32 v97, a201
	v_accvgpr_read_b32 v102, a218
	v_accvgpr_read_b32 v103, a219
	v_accvgpr_read_b32 v104, a224
	v_accvgpr_read_b32 v101, a217
	v_accvgpr_read_b32 v106, a226
	v_accvgpr_read_b32 v107, a227
	v_accvgpr_read_b32 v108, a238
	v_accvgpr_read_b32 v105, a225
	v_accvgpr_read_b32 v110, a240
	v_accvgpr_read_b32 v111, a241
	v_accvgpr_read_b32 v109, a239
	s_waitcnt lgkmcnt(0)
	; wave barrier
	s_waitcnt vmcnt(4) lgkmcnt(0)
	v_mul_f64 v[76:77], v[82:83], v[242:243]
	v_mul_f64 v[78:79], v[82:83], v[240:241]
	v_fmac_f64_e32 v[76:77], v[80:81], v[240:241]
	v_fma_f64 v[78:79], v[80:81], v[242:243], -v[78:79]
	s_waitcnt vmcnt(0)
	v_mul_f64 v[80:81], v[86:87], v[238:239]
	v_mul_f64 v[82:83], v[86:87], v[236:237]
	v_fmac_f64_e32 v[80:81], v[84:85], v[236:237]
	v_fma_f64 v[82:83], v[84:85], v[238:239], -v[82:83]
	v_mul_f64 v[84:85], v[90:91], v[234:235]
	v_mul_f64 v[86:87], v[90:91], v[232:233]
	v_fmac_f64_e32 v[84:85], v[88:89], v[232:233]
	v_fma_f64 v[86:87], v[88:89], v[234:235], -v[86:87]
	;; [unrolled: 4-line block ×6, first 2 shown]
	v_mul_f64 v[104:105], v[110:111], v[214:215]
	v_mul_f64 v[106:107], v[110:111], v[212:213]
	v_accvgpr_read_b32 v110, a112
	v_accvgpr_read_b32 v112, a114
	;; [unrolled: 1-line block ×3, first 2 shown]
	v_fmac_f64_e32 v[104:105], v[108:109], v[212:213]
	v_fma_f64 v[106:107], v[108:109], v[214:215], -v[106:107]
	v_accvgpr_read_b32 v111, a113
	v_mul_f64 v[108:109], v[112:113], v[70:71]
	v_fmac_f64_e32 v[108:109], v[110:111], v[68:69]
	v_mul_f64 v[68:69], v[112:113], v[68:69]
	v_fma_f64 v[68:69], v[110:111], v[70:71], -v[68:69]
	v_accvgpr_read_b32 v113, a39
	v_accvgpr_read_b32 v112, a38
	v_accvgpr_read_b32 v111, a37
	v_accvgpr_read_b32 v110, a36
	v_mul_f64 v[70:71], v[112:113], v[58:59]
	v_fmac_f64_e32 v[70:71], v[110:111], v[56:57]
	v_mul_f64 v[56:57], v[112:113], v[56:57]
	v_fma_f64 v[110:111], v[110:111], v[58:59], -v[56:57]
	v_accvgpr_read_b32 v59, a35
	v_accvgpr_read_b32 v58, a34
	v_accvgpr_read_b32 v57, a33
	;; [unrolled: 8-line block ×9, first 2 shown]
	v_accvgpr_read_b32 v8, a4
	v_mul_f64 v[128:129], v[10:11], v[2:3]
	v_fmac_f64_e32 v[128:129], v[8:9], v[0:1]
	v_mul_f64 v[0:1], v[10:11], v[0:1]
	v_fma_f64 v[2:3], v[8:9], v[2:3], -v[0:1]
	v_add_f64 v[0:1], v[72:73], v[76:77]
	v_add_f64 v[244:245], v[0:1], v[80:81]
	v_add_f64 v[0:1], v[76:77], v[80:81]
	v_fmac_f64_e32 v[72:73], -0.5, v[0:1]
	v_add_f64 v[0:1], v[78:79], -v[82:83]
	v_fma_f64 v[236:237], s[4:5], v[0:1], v[72:73]
	v_fmac_f64_e32 v[72:73], s[6:7], v[0:1]
	v_add_f64 v[0:1], v[74:75], v[78:79]
	v_add_f64 v[246:247], v[0:1], v[82:83]
	v_add_f64 v[0:1], v[78:79], v[82:83]
	v_fmac_f64_e32 v[74:75], -0.5, v[0:1]
	v_add_f64 v[0:1], v[76:77], -v[80:81]
	v_fma_f64 v[238:239], s[6:7], v[0:1], v[74:75]
	v_fmac_f64_e32 v[74:75], s[4:5], v[0:1]
	;; [unrolled: 7-line block ×18, first 2 shown]
	buffer_load_dword v68, off, s[36:39], 0 offset:176 ; 4-byte Folded Reload
	s_waitcnt vmcnt(0)
	ds_write_b128 v68, v[244:247]
	ds_write_b128 v68, v[236:239] offset:144
	ds_write_b128 v68, v[72:75] offset:288
	buffer_load_dword v68, off, s[36:39], 0 offset:140 ; 4-byte Folded Reload
	s_waitcnt vmcnt(0)
	ds_write_b128 v68, v[240:243]
	ds_write_b128 v68, v[232:235] offset:144
	ds_write_b128 v68, v[64:67] offset:288
	;; [unrolled: 5-line block ×3, first 2 shown]
	buffer_load_dword v56, off, s[36:39], 0 ; 4-byte Folded Reload
	s_waitcnt vmcnt(0)
	ds_write_b128 v56, v[224:227]
	ds_write_b128 v56, v[220:223] offset:144
	ds_write_b128 v56, v[52:55] offset:288
	buffer_load_dword v52, off, s[36:39], 0 offset:4 ; 4-byte Folded Reload
	s_waitcnt vmcnt(0)
	ds_write_b128 v52, v[216:219]
	ds_write_b128 v52, v[212:215] offset:144
	ds_write_b128 v52, v[48:51] offset:288
	buffer_load_dword v48, off, s[36:39], 0 offset:12 ; 4-byte Folded Reload
	s_waitcnt vmcnt(0)
	ds_write_b128 v48, v[40:43]
	ds_write_b128 v48, v[36:39] offset:144
	ds_write_b128 v48, v[44:47] offset:288
	buffer_load_dword v36, off, s[36:39], 0 offset:64 ; 4-byte Folded Reload
	s_waitcnt vmcnt(0)
	ds_write_b128 v36, v[32:35]
	ds_write_b128 v36, v[28:31] offset:144
	ds_write_b128 v36, v[16:19] offset:288
	buffer_load_dword v16, off, s[36:39], 0 offset:68 ; 4-byte Folded Reload
	s_waitcnt vmcnt(0)
	ds_write_b128 v16, v[24:27]
	ds_write_b128 v16, v[20:23] offset:144
	ds_write_b128 v16, v[12:15] offset:288
	buffer_load_dword v12, off, s[36:39], 0 offset:8 ; 4-byte Folded Reload
	s_waitcnt vmcnt(0)
	ds_write_b128 v12, v[8:11]
	ds_write_b128 v12, v[0:3] offset:144
	ds_write_b128 v12, v[4:7] offset:288
	s_waitcnt lgkmcnt(0)
	; wave barrier
	s_waitcnt lgkmcnt(0)
	ds_read_b128 v[0:3], v116
	ds_read_b128 v[40:43], v116 offset:9072
	ds_read_b128 v[36:39], v116 offset:18144
	;; [unrolled: 1-line block ×26, first 2 shown]
	buffer_load_dword v86, off, s[36:39], 0 offset:504 ; 4-byte Folded Reload
	buffer_load_dword v87, off, s[36:39], 0 offset:508 ; 4-byte Folded Reload
	;; [unrolled: 1-line block ×8, first 2 shown]
	s_waitcnt vmcnt(4) lgkmcnt(14)
	v_mul_f64 v[84:85], v[88:89], v[42:43]
	v_fmac_f64_e32 v[84:85], v[86:87], v[40:41]
	v_mul_f64 v[40:41], v[88:89], v[40:41]
	v_fma_f64 v[42:43], v[86:87], v[42:43], -v[40:41]
	s_waitcnt vmcnt(0)
	v_mul_f64 v[86:87], v[100:101], v[38:39]
	v_fmac_f64_e32 v[86:87], v[98:99], v[36:37]
	v_mul_f64 v[36:37], v[100:101], v[36:37]
	v_fma_f64 v[88:89], v[98:99], v[38:39], -v[36:37]
	buffer_load_dword v38, off, s[36:39], 0 offset:552 ; 4-byte Folded Reload
	buffer_load_dword v39, off, s[36:39], 0 offset:556 ; 4-byte Folded Reload
	;; [unrolled: 1-line block ×4, first 2 shown]
	s_waitcnt vmcnt(0)
	v_mul_f64 v[98:99], v[40:41], v[46:47]
	v_mul_f64 v[36:37], v[40:41], v[44:45]
	v_fmac_f64_e32 v[98:99], v[38:39], v[44:45]
	v_fma_f64 v[100:101], v[38:39], v[46:47], -v[36:37]
	buffer_load_dword v38, off, s[36:39], 0 offset:536 ; 4-byte Folded Reload
	buffer_load_dword v39, off, s[36:39], 0 offset:540 ; 4-byte Folded Reload
	;; [unrolled: 1-line block ×4, first 2 shown]
	v_add_f64 v[44:45], v[84:85], -v[86:87]
	s_waitcnt vmcnt(0)
	v_mul_f64 v[102:103], v[40:41], v[50:51]
	v_mul_f64 v[36:37], v[40:41], v[48:49]
	v_fmac_f64_e32 v[102:103], v[38:39], v[48:49]
	v_fma_f64 v[50:51], v[38:39], v[50:51], -v[36:37]
	buffer_load_dword v38, off, s[36:39], 0 offset:568 ; 4-byte Folded Reload
	buffer_load_dword v39, off, s[36:39], 0 offset:572 ; 4-byte Folded Reload
	;; [unrolled: 1-line block ×4, first 2 shown]
	v_add_f64 v[46:47], v[98:99], v[102:103]
	s_waitcnt vmcnt(0)
	v_mul_f64 v[108:109], v[40:41], v[54:55]
	v_mul_f64 v[36:37], v[40:41], v[52:53]
	v_fmac_f64_e32 v[108:109], v[38:39], v[52:53]
	v_fma_f64 v[110:111], v[38:39], v[54:55], -v[36:37]
	buffer_load_dword v38, off, s[36:39], 0 offset:584 ; 4-byte Folded Reload
	buffer_load_dword v39, off, s[36:39], 0 offset:588 ; 4-byte Folded Reload
	buffer_load_dword v40, off, s[36:39], 0 offset:592 ; 4-byte Folded Reload
	buffer_load_dword v41, off, s[36:39], 0 offset:596 ; 4-byte Folded Reload
	s_waitcnt vmcnt(0)
	v_mul_f64 v[112:113], v[40:41], v[58:59]
	v_mul_f64 v[36:37], v[40:41], v[56:57]
	v_fmac_f64_e32 v[112:113], v[38:39], v[56:57]
	v_fma_f64 v[114:115], v[38:39], v[58:59], -v[36:37]
	buffer_load_dword v38, off, s[36:39], 0 offset:600 ; 4-byte Folded Reload
	buffer_load_dword v39, off, s[36:39], 0 offset:604 ; 4-byte Folded Reload
	buffer_load_dword v40, off, s[36:39], 0 offset:608 ; 4-byte Folded Reload
	buffer_load_dword v41, off, s[36:39], 0 offset:612 ; 4-byte Folded Reload
	;; [unrolled: 9-line block ×3, first 2 shown]
	v_add_f64 v[60:61], v[98:99], -v[102:103]
	v_add_f64 v[62:63], v[108:109], v[112:113]
	s_waitcnt vmcnt(0)
	v_mul_f64 v[122:123], v[40:41], v[66:67]
	v_mul_f64 v[36:37], v[40:41], v[64:65]
	v_fmac_f64_e32 v[122:123], v[38:39], v[64:65]
	v_fma_f64 v[124:125], v[38:39], v[66:67], -v[36:37]
	buffer_load_dword v38, off, s[36:39], 0 offset:648 ; 4-byte Folded Reload
	buffer_load_dword v39, off, s[36:39], 0 offset:652 ; 4-byte Folded Reload
	;; [unrolled: 1-line block ×4, first 2 shown]
	v_add_f64 v[66:67], v[110:111], v[114:115]
	s_waitcnt vmcnt(0) lgkmcnt(13)
	v_mul_f64 v[126:127], v[40:41], v[70:71]
	v_mul_f64 v[36:37], v[40:41], v[68:69]
	v_fmac_f64_e32 v[126:127], v[38:39], v[68:69]
	v_fma_f64 v[128:129], v[38:39], v[70:71], -v[36:37]
	buffer_load_dword v38, off, s[36:39], 0 offset:664 ; 4-byte Folded Reload
	buffer_load_dword v39, off, s[36:39], 0 offset:668 ; 4-byte Folded Reload
	;; [unrolled: 1-line block ×4, first 2 shown]
	v_add_f64 v[68:69], v[108:109], -v[112:113]
	v_add_f64 v[70:71], v[118:119], v[122:123]
	s_waitcnt vmcnt(0) lgkmcnt(12)
	v_mul_f64 v[130:131], v[40:41], v[74:75]
	v_mul_f64 v[36:37], v[40:41], v[72:73]
	v_fmac_f64_e32 v[130:131], v[38:39], v[72:73]
	v_fma_f64 v[224:225], v[38:39], v[74:75], -v[36:37]
	buffer_load_dword v38, off, s[36:39], 0 offset:696 ; 4-byte Folded Reload
	buffer_load_dword v39, off, s[36:39], 0 offset:700 ; 4-byte Folded Reload
	;; [unrolled: 1-line block ×4, first 2 shown]
	v_add_f64 v[74:75], v[120:121], v[124:125]
	s_waitcnt lgkmcnt(0)
	; wave barrier
	s_waitcnt vmcnt(0) lgkmcnt(0)
	v_mul_f64 v[226:227], v[40:41], v[78:79]
	v_mul_f64 v[36:37], v[40:41], v[76:77]
	v_fmac_f64_e32 v[226:227], v[38:39], v[76:77]
	v_fma_f64 v[228:229], v[38:39], v[78:79], -v[36:37]
	v_accvgpr_read_b32 v38, a184
	v_accvgpr_read_b32 v40, a186
	v_accvgpr_read_b32 v41, a187
	v_accvgpr_read_b32 v39, a185
	v_mul_f64 v[230:231], v[40:41], v[82:83]
	v_mul_f64 v[36:37], v[40:41], v[80:81]
	v_fmac_f64_e32 v[230:231], v[38:39], v[80:81]
	v_fma_f64 v[232:233], v[38:39], v[82:83], -v[36:37]
	v_accvgpr_read_b32 v38, a196
	v_accvgpr_read_b32 v40, a198
	v_accvgpr_read_b32 v41, a199
	v_accvgpr_read_b32 v39, a197
	;; [unrolled: 8-line block ×7, first 2 shown]
	v_mul_f64 v[54:55], v[40:41], v[222:223]
	v_mul_f64 v[36:37], v[40:41], v[220:221]
	v_fmac_f64_e32 v[54:55], v[38:39], v[220:221]
	v_fma_f64 v[58:59], v[38:39], v[222:223], -v[36:37]
	v_add_f64 v[38:39], v[84:85], v[86:87]
	v_add_f64 v[36:37], v[0:1], v[84:85]
	v_fmac_f64_e32 v[0:1], -0.5, v[38:39]
	v_add_f64 v[38:39], v[42:43], -v[88:89]
	v_fma_f64 v[40:41], s[4:5], v[38:39], v[0:1]
	v_fmac_f64_e32 v[0:1], s[6:7], v[38:39]
	v_add_f64 v[38:39], v[2:3], v[42:43]
	v_add_f64 v[42:43], v[42:43], v[88:89]
	v_fmac_f64_e32 v[2:3], -0.5, v[42:43]
	v_fma_f64 v[42:43], s[6:7], v[44:45], v[2:3]
	v_fmac_f64_e32 v[2:3], s[4:5], v[44:45]
	v_add_f64 v[44:45], v[4:5], v[98:99]
	v_fmac_f64_e32 v[4:5], -0.5, v[46:47]
	v_add_f64 v[46:47], v[100:101], -v[50:51]
	v_fma_f64 v[48:49], s[4:5], v[46:47], v[4:5]
	v_fmac_f64_e32 v[4:5], s[6:7], v[46:47]
	v_add_f64 v[46:47], v[6:7], v[100:101]
	v_add_f64 v[46:47], v[46:47], v[50:51]
	v_add_f64 v[50:51], v[100:101], v[50:51]
	v_fmac_f64_e32 v[6:7], -0.5, v[50:51]
	v_fma_f64 v[50:51], s[6:7], v[60:61], v[6:7]
	v_fmac_f64_e32 v[6:7], s[4:5], v[60:61]
	v_add_f64 v[60:61], v[8:9], v[108:109]
	v_fmac_f64_e32 v[8:9], -0.5, v[62:63]
	v_add_f64 v[62:63], v[110:111], -v[114:115]
	v_fma_f64 v[64:65], s[4:5], v[62:63], v[8:9]
	v_fmac_f64_e32 v[8:9], s[6:7], v[62:63]
	v_add_f64 v[62:63], v[10:11], v[110:111]
	v_fmac_f64_e32 v[10:11], -0.5, v[66:67]
	v_fma_f64 v[66:67], s[6:7], v[68:69], v[10:11]
	v_fmac_f64_e32 v[10:11], s[4:5], v[68:69]
	v_add_f64 v[68:69], v[12:13], v[118:119]
	v_fmac_f64_e32 v[12:13], -0.5, v[70:71]
	v_add_f64 v[70:71], v[120:121], -v[124:125]
	v_fma_f64 v[72:73], s[4:5], v[70:71], v[12:13]
	v_fmac_f64_e32 v[12:13], s[6:7], v[70:71]
	v_add_f64 v[70:71], v[14:15], v[120:121]
	v_fmac_f64_e32 v[14:15], -0.5, v[74:75]
	v_add_f64 v[76:77], v[118:119], -v[122:123]
	v_add_f64 v[78:79], v[126:127], v[130:131]
	v_fma_f64 v[74:75], s[6:7], v[76:77], v[14:15]
	v_fmac_f64_e32 v[14:15], s[4:5], v[76:77]
	v_add_f64 v[76:77], v[16:17], v[126:127]
	v_fmac_f64_e32 v[16:17], -0.5, v[78:79]
	v_add_f64 v[78:79], v[128:129], -v[224:225]
	v_add_f64 v[82:83], v[128:129], v[224:225]
	v_fma_f64 v[80:81], s[4:5], v[78:79], v[16:17]
	v_fmac_f64_e32 v[16:17], s[6:7], v[78:79]
	v_add_f64 v[78:79], v[18:19], v[128:129]
	v_fmac_f64_e32 v[18:19], -0.5, v[82:83]
	v_add_f64 v[84:85], v[126:127], -v[130:131]
	v_fma_f64 v[82:83], s[6:7], v[84:85], v[18:19]
	v_fmac_f64_e32 v[18:19], s[4:5], v[84:85]
	v_add_f64 v[84:85], v[28:29], v[226:227]
	v_add_f64 v[90:91], v[84:85], v[230:231]
	v_add_f64 v[84:85], v[226:227], v[230:231]
	v_fmac_f64_e32 v[28:29], -0.5, v[84:85]
	v_add_f64 v[84:85], v[228:229], -v[232:233]
	v_fma_f64 v[94:95], s[4:5], v[84:85], v[28:29]
	v_fmac_f64_e32 v[28:29], s[6:7], v[84:85]
	v_add_f64 v[84:85], v[30:31], v[228:229]
	v_add_f64 v[92:93], v[84:85], v[232:233]
	;; [unrolled: 7-line block ×7, first 2 shown]
	v_add_f64 v[224:225], v[84:85], v[54:55]
	v_add_f64 v[84:85], v[52:53], v[54:55]
	v_fmac_f64_e32 v[20:21], -0.5, v[84:85]
	v_add_f64 v[84:85], v[56:57], -v[58:59]
	v_fma_f64 v[228:229], s[4:5], v[84:85], v[20:21]
	v_fmac_f64_e32 v[20:21], s[6:7], v[84:85]
	v_add_f64 v[84:85], v[22:23], v[56:57]
	v_add_f64 v[56:57], v[56:57], v[58:59]
	v_fmac_f64_e32 v[22:23], -0.5, v[56:57]
	v_add_f64 v[52:53], v[52:53], -v[54:55]
	v_fma_f64 v[230:231], s[6:7], v[52:53], v[22:23]
	v_fmac_f64_e32 v[22:23], s[4:5], v[52:53]
	buffer_load_dword v52, off, s[36:39], 0 offset:736 ; 4-byte Folded Reload
	v_add_f64 v[36:37], v[36:37], v[86:87]
	v_add_f64 v[38:39], v[38:39], v[88:89]
	s_waitcnt vmcnt(0)
	ds_write_b128 v52, v[36:39]
	ds_write_b128 v52, v[40:43] offset:432
	ds_write_b128 v52, v[0:3] offset:864
	buffer_load_dword v0, off, s[36:39], 0 offset:744 ; 4-byte Folded Reload
	v_add_f64 v[44:45], v[44:45], v[102:103]
	s_waitcnt vmcnt(0)
	ds_write_b128 v0, v[44:47]
	ds_write_b128 v0, v[48:51] offset:432
	ds_write_b128 v0, v[4:7] offset:864
	buffer_load_dword v0, off, s[36:39], 0 offset:752 ; 4-byte Folded Reload
	v_add_f64 v[60:61], v[60:61], v[112:113]
	v_add_f64 v[62:63], v[62:63], v[114:115]
	s_waitcnt vmcnt(0)
	ds_write_b128 v0, v[60:63]
	ds_write_b128 v0, v[64:67] offset:432
	ds_write_b128 v0, v[8:11] offset:864
	buffer_load_dword v0, off, s[36:39], 0 offset:760 ; 4-byte Folded Reload
	v_add_f64 v[68:69], v[68:69], v[122:123]
	v_add_f64 v[70:71], v[70:71], v[124:125]
	;; [unrolled: 1-line block ×3, first 2 shown]
	s_waitcnt vmcnt(0)
	ds_write_b128 v0, v[68:71]
	ds_write_b128 v0, v[72:75] offset:432
	ds_write_b128 v0, v[12:15] offset:864
	v_accvgpr_read_b32 v0, a237
	ds_write_b128 v0, v[76:79]
	ds_write_b128 v0, v[80:83] offset:432
	ds_write_b128 v0, v[16:19] offset:864
	v_accvgpr_read_b32 v0, a171
	;; [unrolled: 4-line block ×4, first 2 shown]
	v_accvgpr_read_b32 v89, a85
	v_add_f64 v[226:227], v[84:85], v[58:59]
	ds_write_b128 v0, v[216:219]
	ds_write_b128 v0, v[220:223] offset:432
	ds_write_b128 v0, v[24:27] offset:864
	v_accvgpr_read_b32 v0, a170
	v_accvgpr_read_b32 v88, a84
	ds_write_b128 v0, v[224:227]
	ds_write_b128 v0, v[228:231] offset:432
	ds_write_b128 v0, v[20:23] offset:864
	s_waitcnt lgkmcnt(0)
	; wave barrier
	s_waitcnt lgkmcnt(0)
	ds_read_b128 v[24:27], v116
	ds_read_b128 v[12:15], v116 offset:9072
	ds_read_b128 v[8:11], v116 offset:18144
	;; [unrolled: 1-line block ×26, first 2 shown]
	v_accvgpr_read_b32 v87, a83
	v_accvgpr_read_b32 v86, a82
	s_waitcnt lgkmcnt(14)
	v_mul_f64 v[84:85], v[88:89], v[14:15]
	v_fmac_f64_e32 v[84:85], v[86:87], v[12:13]
	v_mul_f64 v[12:13], v[88:89], v[12:13]
	v_fma_f64 v[12:13], v[86:87], v[14:15], -v[12:13]
	v_accvgpr_read_b32 v86, a100
	v_accvgpr_read_b32 v88, a102
	v_accvgpr_read_b32 v89, a103
	v_accvgpr_read_b32 v87, a101
	v_mul_f64 v[14:15], v[88:89], v[10:11]
	v_fmac_f64_e32 v[14:15], v[86:87], v[8:9]
	v_mul_f64 v[8:9], v[88:89], v[8:9]
	v_fma_f64 v[8:9], v[86:87], v[10:11], -v[8:9]
	v_accvgpr_read_b32 v86, a108
	v_accvgpr_read_b32 v88, a110
	v_accvgpr_read_b32 v89, a111
	v_accvgpr_read_b32 v87, a109
	;; [unrolled: 8-line block ×3, first 2 shown]
	v_mul_f64 v[18:19], v[88:89], v[22:23]
	v_accvgpr_read_b32 v101, a49
	v_fmac_f64_e32 v[18:19], v[86:87], v[20:21]
	v_mul_f64 v[20:21], v[88:89], v[20:21]
	v_accvgpr_read_b32 v100, a48
	v_fma_f64 v[20:21], v[86:87], v[22:23], -v[20:21]
	v_accvgpr_read_b32 v99, a47
	v_accvgpr_read_b32 v98, a46
	v_mul_f64 v[86:87], v[100:101], v[54:55]
	v_mul_f64 v[22:23], v[100:101], v[52:53]
	v_fmac_f64_e32 v[86:87], v[98:99], v[52:53]
	v_fma_f64 v[88:89], v[98:99], v[54:55], -v[22:23]
	v_accvgpr_read_b32 v52, a116
	v_accvgpr_read_b32 v54, a118
	v_accvgpr_read_b32 v55, a119
	v_accvgpr_read_b32 v53, a117
	v_mul_f64 v[98:99], v[54:55], v[58:59]
	v_mul_f64 v[22:23], v[54:55], v[56:57]
	v_fmac_f64_e32 v[98:99], v[52:53], v[56:57]
	v_fma_f64 v[100:101], v[52:53], v[58:59], -v[22:23]
	v_accvgpr_read_b32 v52, a120
	v_accvgpr_read_b32 v54, a122
	;; [unrolled: 8-line block ×4, first 2 shown]
	v_accvgpr_read_b32 v55, a127
	v_accvgpr_read_b32 v53, a125
	s_waitcnt lgkmcnt(13)
	v_mul_f64 v[114:115], v[54:55], v[70:71]
	v_mul_f64 v[22:23], v[54:55], v[68:69]
	v_fmac_f64_e32 v[114:115], v[52:53], v[68:69]
	v_fma_f64 v[118:119], v[52:53], v[70:71], -v[22:23]
	v_accvgpr_read_b32 v52, a134
	v_accvgpr_read_b32 v54, a136
	v_accvgpr_read_b32 v55, a137
	v_accvgpr_read_b32 v53, a135
	s_waitcnt lgkmcnt(12)
	v_mul_f64 v[120:121], v[54:55], v[74:75]
	v_mul_f64 v[22:23], v[54:55], v[72:73]
	v_fmac_f64_e32 v[120:121], v[52:53], v[72:73]
	v_fma_f64 v[122:123], v[52:53], v[74:75], -v[22:23]
	v_accvgpr_read_b32 v52, a142
	v_accvgpr_read_b32 v54, a144
	;; [unrolled: 9-line block ×7, first 2 shown]
	v_accvgpr_read_b32 v55, a161
	s_waitcnt lgkmcnt(3)
	v_mul_f64 v[236:237], v[54:55], v[214:215]
	v_mul_f64 v[22:23], v[54:55], v[212:213]
	v_accvgpr_read_b32 v54, a176
	v_accvgpr_read_b32 v53, a159
	;; [unrolled: 1-line block ×4, first 2 shown]
	v_fmac_f64_e32 v[236:237], v[52:53], v[212:213]
	v_fma_f64 v[212:213], v[52:53], v[214:215], -v[22:23]
	v_accvgpr_read_b32 v55, a177
	s_waitcnt lgkmcnt(1)
	v_mul_f64 v[22:23], v[56:57], v[218:219]
	v_mul_f64 v[52:53], v[56:57], v[216:217]
	v_fmac_f64_e32 v[22:23], v[54:55], v[216:217]
	v_fma_f64 v[70:71], v[54:55], v[218:219], -v[52:53]
	v_accvgpr_read_b32 v54, a162
	v_accvgpr_read_b32 v56, a164
	;; [unrolled: 1-line block ×4, first 2 shown]
	s_waitcnt lgkmcnt(0)
	v_mul_f64 v[68:69], v[56:57], v[222:223]
	v_mul_f64 v[52:53], v[56:57], v[220:221]
	v_fmac_f64_e32 v[68:69], v[54:55], v[220:221]
	v_fma_f64 v[72:73], v[54:55], v[222:223], -v[52:53]
	v_add_f64 v[54:55], v[84:85], v[14:15]
	v_add_f64 v[52:53], v[24:25], v[84:85]
	v_fmac_f64_e32 v[24:25], -0.5, v[54:55]
	v_add_f64 v[54:55], v[12:13], -v[8:9]
	v_fma_f64 v[56:57], s[4:5], v[54:55], v[24:25]
	v_fmac_f64_e32 v[24:25], s[6:7], v[54:55]
	v_add_f64 v[54:55], v[26:27], v[12:13]
	v_add_f64 v[54:55], v[54:55], v[8:9]
	v_add_f64 v[8:9], v[12:13], v[8:9]
	v_fmac_f64_e32 v[26:27], -0.5, v[8:9]
	v_add_f64 v[8:9], v[84:85], -v[14:15]
	v_fma_f64 v[58:59], s[6:7], v[8:9], v[26:27]
	v_fmac_f64_e32 v[26:27], s[4:5], v[8:9]
	v_add_f64 v[8:9], v[28:29], v[10:11]
	;; [unrolled: 7-line block ×13, first 2 shown]
	v_add_f64 v[110:111], v[8:9], v[230:231]
	v_add_f64 v[8:9], v[226:227], v[230:231]
	;; [unrolled: 1-line block ×3, first 2 shown]
	v_fmac_f64_e32 v[50:51], -0.5, v[8:9]
	v_add_f64 v[8:9], v[224:225], -v[228:229]
	v_add_f64 v[10:11], v[232:233], v[236:237]
	v_fma_f64 v[114:115], s[6:7], v[8:9], v[50:51]
	v_fmac_f64_e32 v[50:51], s[4:5], v[8:9]
	v_add_f64 v[8:9], v[0:1], v[232:233]
	v_fmac_f64_e32 v[0:1], -0.5, v[10:11]
	v_add_f64 v[10:11], v[234:235], -v[212:213]
	v_add_f64 v[14:15], v[234:235], v[212:213]
	s_waitcnt lgkmcnt(0)
	; wave barrier
	ds_write_b128 v116, v[52:55]
	ds_write_b128 v116, v[56:59] offset:1296
	ds_write_b128 v116, v[24:27] offset:2592
	v_accvgpr_read_b32 v24, a45
	v_fma_f64 v[12:13], s[4:5], v[10:11], v[0:1]
	v_fmac_f64_e32 v[0:1], s[6:7], v[10:11]
	v_add_f64 v[10:11], v[2:3], v[234:235]
	v_fmac_f64_e32 v[2:3], -0.5, v[14:15]
	v_add_f64 v[16:17], v[232:233], -v[236:237]
	v_add_f64 v[18:19], v[22:23], v[68:69]
	ds_write_b128 v24, v[60:63]
	ds_write_b128 v24, v[64:67] offset:1296
	ds_write_b128 v24, v[28:31] offset:2592
	v_accvgpr_read_b32 v24, a128
	v_fma_f64 v[14:15], s[6:7], v[16:17], v[2:3]
	v_fmac_f64_e32 v[2:3], s[4:5], v[16:17]
	v_add_f64 v[16:17], v[4:5], v[22:23]
	v_fmac_f64_e32 v[4:5], -0.5, v[18:19]
	v_add_f64 v[18:19], v[70:71], -v[72:73]
	ds_write_b128 v24, v[74:77]
	ds_write_b128 v24, v[78:81] offset:1296
	ds_write_b128 v24, v[32:35] offset:2592
	v_accvgpr_read_b32 v24, a91
	v_fma_f64 v[20:21], s[4:5], v[18:19], v[4:5]
	v_fmac_f64_e32 v[4:5], s[6:7], v[18:19]
	v_add_f64 v[18:19], v[6:7], v[70:71]
	v_add_f64 v[70:71], v[70:71], v[72:73]
	ds_write_b128 v24, v[82:85]
	ds_write_b128 v24, v[86:89] offset:1296
	ds_write_b128 v24, v[36:39] offset:2592
	v_accvgpr_read_b32 v24, a129
	v_add_f64 v[8:9], v[8:9], v[236:237]
	v_add_f64 v[10:11], v[10:11], v[212:213]
	;; [unrolled: 1-line block ×3, first 2 shown]
	v_fmac_f64_e32 v[6:7], -0.5, v[70:71]
	v_add_f64 v[68:69], v[22:23], -v[68:69]
	ds_write_b128 v24, v[90:93] offset:11664
	ds_write_b128 v24, v[94:97] offset:12960
	;; [unrolled: 1-line block ×3, first 2 shown]
	ds_write_b128 v142, v[100:103]
	ds_write_b128 v142, v[104:107] offset:1296
	ds_write_b128 v142, v[44:47] offset:2592
	ds_write_b128 v143, v[108:111]
	ds_write_b128 v143, v[112:115] offset:1296
	ds_write_b128 v143, v[48:51] offset:2592
	v_accvgpr_read_b32 v24, a236
	v_add_f64 v[18:19], v[18:19], v[72:73]
	v_fma_f64 v[22:23], s[6:7], v[68:69], v[6:7]
	v_fmac_f64_e32 v[6:7], s[4:5], v[68:69]
	ds_write_b128 v24, v[8:11]
	ds_write_b128 v24, v[12:15] offset:1296
	ds_write_b128 v24, v[0:3] offset:2592
	;; [unrolled: 1-line block ×5, first 2 shown]
	s_waitcnt lgkmcnt(0)
	; wave barrier
	s_waitcnt lgkmcnt(0)
	ds_read_b128 v[32:35], v116
	ds_read_b128 v[104:107], v116 offset:3888
	ds_read_b128 v[100:103], v116 offset:7776
	;; [unrolled: 1-line block ×20, first 2 shown]
	s_and_saveexec_b64 s[4:5], s[0:1]
	s_cbranch_execz .LBB0_7
; %bb.6:
	ds_read_b128 v[8:11], v116 offset:3024
	ds_read_b128 v[12:15], v116 offset:6912
	;; [unrolled: 1-line block ×7, first 2 shown]
.LBB0_7:
	s_or_b64 exec, exec, s[4:5]
	s_waitcnt lgkmcnt(14)
	v_mul_f64 v[108:109], v[154:155], v[106:107]
	v_fmac_f64_e32 v[108:109], v[152:153], v[104:105]
	v_mul_f64 v[104:105], v[154:155], v[104:105]
	v_fma_f64 v[104:105], v[152:153], v[106:107], -v[104:105]
	v_mul_f64 v[106:107], v[150:151], v[102:103]
	v_fmac_f64_e32 v[106:107], v[148:149], v[100:101]
	v_mul_f64 v[100:101], v[150:151], v[100:101]
	v_fma_f64 v[100:101], v[148:149], v[102:103], -v[100:101]
	v_mul_f64 v[102:103], v[146:147], v[98:99]
	v_accvgpr_read_b32 v110, a180
	v_fmac_f64_e32 v[102:103], v[144:145], v[96:97]
	v_mul_f64 v[96:97], v[146:147], v[96:97]
	v_accvgpr_read_b32 v112, a182
	v_accvgpr_read_b32 v113, a183
	v_fma_f64 v[96:97], v[144:145], v[98:99], -v[96:97]
	v_accvgpr_read_b32 v111, a181
	v_mul_f64 v[98:99], v[112:113], v[94:95]
	v_fmac_f64_e32 v[98:99], v[110:111], v[92:93]
	v_mul_f64 v[92:93], v[112:113], v[92:93]
	v_fma_f64 v[92:93], v[110:111], v[94:95], -v[92:93]
	v_mul_f64 v[94:95], v[162:163], v[90:91]
	v_fmac_f64_e32 v[94:95], v[160:161], v[88:89]
	v_mul_f64 v[88:89], v[162:163], v[88:89]
	v_fma_f64 v[88:89], v[160:161], v[90:91], -v[88:89]
	;; [unrolled: 4-line block ×3, first 2 shown]
	s_waitcnt lgkmcnt(12)
	v_mul_f64 v[112:113], v[178:179], v[86:87]
	v_mul_f64 v[76:77], v[178:179], v[84:85]
	s_waitcnt lgkmcnt(10)
	v_mul_f64 v[118:119], v[170:171], v[74:75]
	v_fmac_f64_e32 v[112:113], v[176:177], v[84:85]
	v_fma_f64 v[84:85], v[176:177], v[86:87], -v[76:77]
	v_mul_f64 v[86:87], v[174:175], v[82:83]
	v_fmac_f64_e32 v[118:119], v[168:169], v[72:73]
	v_mul_f64 v[72:73], v[170:171], v[72:73]
	s_waitcnt lgkmcnt(8)
	v_mul_f64 v[126:127], v[186:187], v[66:67]
	s_waitcnt lgkmcnt(7)
	v_mul_f64 v[130:131], v[182:183], v[62:63]
	v_fmac_f64_e32 v[86:87], v[172:173], v[80:81]
	v_mul_f64 v[76:77], v[174:175], v[80:81]
	v_fma_f64 v[120:121], v[168:169], v[74:75], -v[72:73]
	v_fmac_f64_e32 v[126:127], v[184:185], v[64:65]
	v_mul_f64 v[64:65], v[186:187], v[64:65]
	v_fmac_f64_e32 v[130:131], v[180:181], v[60:61]
	v_mul_f64 v[60:61], v[182:183], v[60:61]
	s_waitcnt lgkmcnt(2)
	v_mul_f64 v[72:73], v[190:191], v[46:47]
	s_waitcnt lgkmcnt(0)
	v_mul_f64 v[80:81], v[206:207], v[38:39]
	v_mul_f64 v[122:123], v[166:167], v[70:71]
	v_fma_f64 v[128:129], v[184:185], v[66:67], -v[64:65]
	v_fma_f64 v[132:133], v[180:181], v[62:63], -v[60:61]
	v_mul_f64 v[62:63], v[198:199], v[54:55]
	v_mul_f64 v[64:65], v[194:195], v[50:51]
	v_fmac_f64_e32 v[72:73], v[188:189], v[44:45]
	v_mul_f64 v[44:45], v[190:191], v[44:45]
	v_fmac_f64_e32 v[80:81], v[204:205], v[36:37]
	v_mul_f64 v[36:37], v[206:207], v[36:37]
	v_fma_f64 v[114:115], v[172:173], v[82:83], -v[76:77]
	v_fmac_f64_e32 v[122:123], v[164:165], v[68:69]
	v_mul_f64 v[68:69], v[166:167], v[68:69]
	v_mul_f64 v[60:61], v[202:203], v[58:59]
	v_fmac_f64_e32 v[62:63], v[196:197], v[52:53]
	v_mul_f64 v[52:53], v[198:199], v[52:53]
	v_fmac_f64_e32 v[64:65], v[192:193], v[48:49]
	v_mul_f64 v[48:49], v[194:195], v[48:49]
	v_fma_f64 v[74:75], v[188:189], v[46:47], -v[44:45]
	v_mul_f64 v[76:77], v[210:211], v[42:43]
	v_fma_f64 v[82:83], v[204:205], v[38:39], -v[36:37]
	v_add_f64 v[36:37], v[108:109], v[90:91]
	v_add_f64 v[44:45], v[106:107], v[94:95]
	v_fma_f64 v[124:125], v[164:165], v[70:71], -v[68:69]
	v_fmac_f64_e32 v[60:61], v[200:201], v[56:57]
	v_mul_f64 v[56:57], v[202:203], v[56:57]
	v_fma_f64 v[68:69], v[196:197], v[54:55], -v[52:53]
	v_fma_f64 v[70:71], v[192:193], v[50:51], -v[48:49]
	v_fmac_f64_e32 v[76:77], v[208:209], v[40:41]
	v_mul_f64 v[40:41], v[210:211], v[40:41]
	v_add_f64 v[38:39], v[104:105], v[110:111]
	v_add_f64 v[46:47], v[100:101], v[88:89]
	v_add_f64 v[50:51], v[100:101], -v[88:89]
	v_add_f64 v[52:53], v[102:103], v[98:99]
	v_add_f64 v[88:89], v[44:45], v[36:37]
	v_fma_f64 v[66:67], v[200:201], v[58:59], -v[56:57]
	v_fma_f64 v[78:79], v[208:209], v[42:43], -v[40:41]
	v_add_f64 v[40:41], v[108:109], -v[90:91]
	v_add_f64 v[54:55], v[96:97], v[92:93]
	v_add_f64 v[58:59], v[92:93], -v[96:97]
	v_add_f64 v[90:91], v[46:47], v[38:39]
	v_add_f64 v[92:93], v[44:45], -v[36:37]
	v_add_f64 v[36:37], v[36:37], -v[52:53]
	;; [unrolled: 1-line block ×3, first 2 shown]
	v_add_f64 v[52:53], v[52:53], v[88:89]
	v_add_f64 v[42:43], v[104:105], -v[110:111]
	v_add_f64 v[48:49], v[106:107], -v[94:95]
	;; [unrolled: 1-line block ×6, first 2 shown]
	v_add_f64 v[54:55], v[54:55], v[90:91]
	v_add_f64 v[32:33], v[32:33], v[52:53]
	s_mov_b32 s12, 0x37e14327
	s_mov_b32 s14, 0x36b3c0b5
	;; [unrolled: 1-line block ×4, first 2 shown]
	v_add_f64 v[96:97], v[56:57], v[48:49]
	v_add_f64 v[98:99], v[58:59], v[50:51]
	v_add_f64 v[100:101], v[56:57], -v[48:49]
	v_add_f64 v[102:103], v[58:59], -v[50:51]
	;; [unrolled: 1-line block ×4, first 2 shown]
	v_add_f64 v[34:35], v[34:35], v[54:55]
	s_mov_b32 s13, 0x3fe948f6
	s_mov_b32 s15, 0x3fac98ee
	s_mov_b32 s17, 0x3fe11646
	s_mov_b32 s5, 0xbfebfeb5
	v_pk_mov_b32 v[104:105], v[32:33], v[32:33] op_sel:[0,1]
	s_mov_b32 s6, 0x5476071b
	s_mov_b32 s26, 0xb247c609
	v_add_f64 v[56:57], v[40:41], -v[56:57]
	v_add_f64 v[58:59], v[42:43], -v[58:59]
	v_add_f64 v[40:41], v[96:97], v[40:41]
	v_add_f64 v[42:43], v[98:99], v[42:43]
	v_mul_f64 v[36:37], v[36:37], s[12:13]
	v_mul_f64 v[38:39], v[38:39], s[12:13]
	;; [unrolled: 1-line block ×8, first 2 shown]
	v_fmac_f64_e32 v[104:105], s[24:25], v[52:53]
	v_pk_mov_b32 v[52:53], v[34:35], v[34:35] op_sel:[0,1]
	s_mov_b32 s7, 0x3fe77f67
	s_mov_b32 s18, s6
	;; [unrolled: 1-line block ×6, first 2 shown]
	v_fmac_f64_e32 v[52:53], s[24:25], v[54:55]
	v_fma_f64 v[54:55], v[92:93], s[6:7], -v[88:89]
	v_fma_f64 v[88:89], v[94:95], s[6:7], -v[90:91]
	;; [unrolled: 1-line block ×3, first 2 shown]
	v_fmac_f64_e32 v[36:37], s[14:15], v[44:45]
	v_fma_f64 v[44:45], v[94:95], s[18:19], -v[38:39]
	v_fma_f64 v[92:93], v[48:49], s[4:5], -v[96:97]
	v_fmac_f64_e32 v[96:97], s[26:27], v[56:57]
	v_fma_f64 v[48:49], v[50:51], s[4:5], -v[98:99]
	v_fmac_f64_e32 v[98:99], s[26:27], v[58:59]
	v_fma_f64 v[56:57], v[56:57], s[22:23], -v[100:101]
	v_fma_f64 v[58:59], v[58:59], s[22:23], -v[102:103]
	s_mov_b32 s21, 0xbfdc38aa
	v_fmac_f64_e32 v[38:39], s[14:15], v[46:47]
	v_add_f64 v[94:95], v[36:37], v[104:105]
	v_add_f64 v[50:51], v[54:55], v[104:105]
	;; [unrolled: 1-line block ×5, first 2 shown]
	v_fmac_f64_e32 v[98:99], s[20:21], v[42:43]
	v_fmac_f64_e32 v[92:93], s[20:21], v[40:41]
	;; [unrolled: 1-line block ×5, first 2 shown]
	v_add_f64 v[100:101], v[38:39], v[52:53]
	v_fmac_f64_e32 v[96:97], s[20:21], v[40:41]
	v_add_f64 v[36:37], v[98:99], v[94:95]
	v_add_f64 v[40:41], v[58:59], v[88:89]
	v_add_f64 v[42:43], v[90:91], -v[56:57]
	v_add_f64 v[44:45], v[50:51], -v[48:49]
	v_add_f64 v[46:47], v[92:93], v[54:55]
	v_add_f64 v[48:49], v[48:49], v[50:51]
	v_add_f64 v[50:51], v[54:55], -v[92:93]
	v_add_f64 v[52:53], v[88:89], -v[58:59]
	v_add_f64 v[54:55], v[56:57], v[90:91]
	v_add_f64 v[56:57], v[94:95], -v[98:99]
	v_add_f64 v[88:89], v[112:113], v[130:131]
	v_add_f64 v[94:95], v[86:87], v[126:127]
	v_add_f64 v[38:39], v[100:101], -v[96:97]
	v_add_f64 v[58:59], v[96:97], v[100:101]
	v_add_f64 v[90:91], v[84:85], v[132:133]
	v_add_f64 v[96:97], v[114:115], v[128:129]
	v_add_f64 v[100:101], v[118:119], v[122:123]
	v_add_f64 v[108:109], v[94:95], v[88:89]
	v_add_f64 v[92:93], v[112:113], -v[130:131]
	v_add_f64 v[102:103], v[120:121], v[124:125]
	v_add_f64 v[110:111], v[96:97], v[90:91]
	v_add_f64 v[112:113], v[94:95], -v[88:89]
	v_add_f64 v[88:89], v[88:89], -v[100:101]
	v_add_f64 v[94:95], v[100:101], -v[94:95]
	v_add_f64 v[100:101], v[100:101], v[108:109]
	v_add_f64 v[84:85], v[84:85], -v[132:133]
	v_add_f64 v[98:99], v[114:115], -v[128:129]
	;; [unrolled: 1-line block ×6, first 2 shown]
	v_add_f64 v[102:103], v[102:103], v[110:111]
	v_add_f64 v[28:29], v[28:29], v[100:101]
	v_add_f64 v[86:87], v[86:87], -v[126:127]
	v_add_f64 v[104:105], v[122:123], -v[118:119]
	v_add_f64 v[120:121], v[106:107], v[98:99]
	v_add_f64 v[124:125], v[106:107], -v[98:99]
	v_add_f64 v[98:99], v[98:99], -v[84:85]
	v_add_f64 v[30:31], v[30:31], v[102:103]
	v_pk_mov_b32 v[126:127], v[28:29], v[28:29] op_sel:[0,1]
	v_add_f64 v[118:119], v[104:105], v[86:87]
	v_add_f64 v[122:123], v[104:105], -v[86:87]
	v_add_f64 v[106:107], v[84:85], -v[106:107]
	;; [unrolled: 1-line block ×3, first 2 shown]
	v_add_f64 v[84:85], v[120:121], v[84:85]
	v_mul_f64 v[88:89], v[88:89], s[12:13]
	v_mul_f64 v[90:91], v[90:91], s[12:13]
	;; [unrolled: 1-line block ×6, first 2 shown]
	v_fmac_f64_e32 v[126:127], s[24:25], v[100:101]
	v_pk_mov_b32 v[100:101], v[30:31], v[30:31] op_sel:[0,1]
	v_add_f64 v[104:105], v[92:93], -v[104:105]
	v_add_f64 v[92:93], v[118:119], v[92:93]
	v_mul_f64 v[118:119], v[122:123], s[16:17]
	v_mul_f64 v[122:123], v[86:87], s[4:5]
	v_fmac_f64_e32 v[100:101], s[24:25], v[102:103]
	v_fma_f64 v[102:103], v[112:113], s[6:7], -v[108:109]
	v_fma_f64 v[108:109], v[114:115], s[6:7], -v[110:111]
	v_fma_f64 v[110:111], v[112:113], s[18:19], -v[88:89]
	v_fmac_f64_e32 v[88:89], s[14:15], v[94:95]
	v_fma_f64 v[94:95], v[114:115], s[18:19], -v[90:91]
	v_fmac_f64_e32 v[90:91], s[14:15], v[96:97]
	v_fma_f64 v[96:97], v[98:99], s[4:5], -v[120:121]
	;; [unrolled: 2-line block ×3, first 2 shown]
	v_fma_f64 v[112:113], v[86:87], s[4:5], -v[118:119]
	v_fmac_f64_e32 v[118:119], s[26:27], v[104:105]
	v_fma_f64 v[104:105], v[104:105], s[22:23], -v[122:123]
	v_add_f64 v[98:99], v[102:103], v[126:127]
	v_add_f64 v[102:103], v[108:109], v[100:101]
	;; [unrolled: 1-line block ×3, first 2 shown]
	v_fmac_f64_e32 v[106:107], s[20:21], v[84:85]
	v_add_f64 v[114:115], v[88:89], v[126:127]
	v_add_f64 v[122:123], v[90:91], v[100:101]
	;; [unrolled: 1-line block ×3, first 2 shown]
	v_fmac_f64_e32 v[112:113], s[20:21], v[92:93]
	v_fmac_f64_e32 v[96:97], s[20:21], v[84:85]
	;; [unrolled: 1-line block ×3, first 2 shown]
	v_add_f64 v[88:89], v[106:107], v[108:109]
	v_add_f64 v[100:101], v[108:109], -v[106:107]
	v_add_f64 v[108:109], v[60:61], v[80:81]
	v_add_f64 v[60:61], v[60:61], -v[80:81]
	v_add_f64 v[80:81], v[62:63], v[76:77]
	v_fmac_f64_e32 v[118:119], s[20:21], v[92:93]
	v_add_f64 v[90:91], v[110:111], -v[104:105]
	v_add_f64 v[92:93], v[98:99], -v[96:97]
	v_add_f64 v[94:95], v[112:113], v[102:103]
	v_add_f64 v[96:97], v[96:97], v[98:99]
	v_add_f64 v[98:99], v[102:103], -v[112:113]
	v_add_f64 v[102:103], v[104:105], v[110:111]
	v_add_f64 v[110:111], v[66:67], v[82:83]
	v_add_f64 v[66:67], v[66:67], -v[82:83]
	v_add_f64 v[82:83], v[68:69], v[78:79]
	v_add_f64 v[62:63], v[62:63], -v[76:77]
	;; [unrolled: 2-line block ×5, first 2 shown]
	v_add_f64 v[74:75], v[82:83], v[110:111]
	v_add_f64 v[72:73], v[76:77], v[72:73]
	v_fmac_f64_e32 v[120:121], s[20:21], v[84:85]
	v_add_f64 v[74:75], v[78:79], v[74:75]
	v_add_f64 v[24:25], v[24:25], v[72:73]
	;; [unrolled: 1-line block ×3, first 2 shown]
	v_add_f64 v[86:87], v[122:123], -v[118:119]
	v_add_f64 v[104:105], v[114:115], -v[120:121]
	v_add_f64 v[106:107], v[118:119], v[122:123]
	v_add_f64 v[112:113], v[80:81], -v[108:109]
	v_add_f64 v[114:115], v[82:83], -v[110:111]
	;; [unrolled: 1-line block ×6, first 2 shown]
	v_add_f64 v[118:119], v[64:65], v[62:63]
	v_add_f64 v[120:121], v[70:71], v[68:69]
	v_add_f64 v[122:123], v[64:65], -v[62:63]
	v_add_f64 v[124:125], v[70:71], -v[68:69]
	;; [unrolled: 1-line block ×4, first 2 shown]
	v_add_f64 v[26:27], v[26:27], v[74:75]
	v_pk_mov_b32 v[126:127], v[24:25], v[24:25] op_sel:[0,1]
	v_add_f64 v[64:65], v[60:61], -v[64:65]
	v_add_f64 v[70:71], v[66:67], -v[70:71]
	v_add_f64 v[60:61], v[118:119], v[60:61]
	v_add_f64 v[66:67], v[120:121], v[66:67]
	v_mul_f64 v[76:77], v[108:109], s[12:13]
	v_mul_f64 v[78:79], v[110:111], s[12:13]
	;; [unrolled: 1-line block ×8, first 2 shown]
	v_fmac_f64_e32 v[126:127], s[24:25], v[72:73]
	v_pk_mov_b32 v[72:73], v[26:27], v[26:27] op_sel:[0,1]
	v_fmac_f64_e32 v[72:73], s[24:25], v[74:75]
	v_fma_f64 v[74:75], v[112:113], s[6:7], -v[108:109]
	v_fma_f64 v[108:109], v[114:115], s[6:7], -v[110:111]
	;; [unrolled: 1-line block ×3, first 2 shown]
	v_fmac_f64_e32 v[76:77], s[14:15], v[80:81]
	v_fma_f64 v[80:81], v[114:115], s[18:19], -v[78:79]
	v_fmac_f64_e32 v[78:79], s[14:15], v[82:83]
	v_fma_f64 v[82:83], v[62:63], s[4:5], -v[118:119]
	;; [unrolled: 2-line block ×4, first 2 shown]
	v_fma_f64 v[122:123], v[70:71], s[22:23], -v[124:125]
	v_add_f64 v[124:125], v[76:77], v[126:127]
	v_add_f64 v[128:129], v[78:79], v[72:73]
	;; [unrolled: 1-line block ×6, first 2 shown]
	v_fmac_f64_e32 v[118:119], s[20:21], v[60:61]
	v_fmac_f64_e32 v[120:121], s[20:21], v[66:67]
	;; [unrolled: 1-line block ×6, first 2 shown]
	v_add_f64 v[60:61], v[120:121], v[124:125]
	v_add_f64 v[62:63], v[128:129], -v[118:119]
	v_add_f64 v[64:65], v[122:123], v[78:79]
	v_add_f64 v[66:67], v[80:81], -v[114:115]
	v_add_f64 v[68:69], v[74:75], -v[112:113]
	v_add_f64 v[70:71], v[82:83], v[76:77]
	v_add_f64 v[72:73], v[112:113], v[74:75]
	v_add_f64 v[74:75], v[76:77], -v[82:83]
	v_add_f64 v[76:77], v[78:79], -v[122:123]
	v_add_f64 v[78:79], v[114:115], v[80:81]
	v_add_f64 v[80:81], v[124:125], -v[120:121]
	v_add_f64 v[82:83], v[118:119], v[128:129]
	ds_write_b128 v116, v[32:35]
	ds_write_b128 v116, v[36:39] offset:3888
	ds_write_b128 v116, v[40:43] offset:7776
	;; [unrolled: 1-line block ×20, first 2 shown]
	s_and_saveexec_b64 s[28:29], s[0:1]
	s_cbranch_execz .LBB0_9
; %bb.8:
	buffer_load_dword v62, off, s[36:39], 0 offset:812 ; 4-byte Folded Reload
	buffer_load_dword v63, off, s[36:39], 0 offset:816 ; 4-byte Folded Reload
	;; [unrolled: 1-line block ×16, first 2 shown]
	v_accvgpr_read_b32 v66, a138
	v_accvgpr_read_b32 v68, a140
	;; [unrolled: 1-line block ×4, first 2 shown]
	v_mul_f64 v[40:41], v[68:69], v[6:7]
	v_fmac_f64_e32 v[40:41], v[66:67], v[4:5]
	v_mul_f64 v[48:49], v[136:137], v[138:139]
	v_mul_f64 v[4:5], v[68:69], v[4:5]
	v_fma_f64 v[48:49], v[134:135], v[140:141], -v[48:49]
	v_fma_f64 v[4:5], v[66:67], v[6:7], -v[4:5]
	v_mul_f64 v[26:27], v[136:137], v[140:141]
	v_fmac_f64_e32 v[26:27], v[134:135], v[138:139]
	s_waitcnt vmcnt(12)
	v_mul_f64 v[24:25], v[64:65], v[14:15]
	v_fmac_f64_e32 v[24:25], v[62:63], v[12:13]
	s_waitcnt vmcnt(4)
	v_mul_f64 v[32:33], v[60:61], v[18:19]
	s_waitcnt vmcnt(0)
	v_mul_f64 v[38:39], v[52:53], v[2:3]
	v_fmac_f64_e32 v[38:39], v[50:51], v[0:1]
	v_mul_f64 v[0:1], v[52:53], v[0:1]
	v_mul_f64 v[12:13], v[64:65], v[12:13]
	v_fma_f64 v[50:51], v[50:51], v[2:3], -v[0:1]
	v_mul_f64 v[2:3], v[60:61], v[16:17]
	v_fmac_f64_e32 v[32:33], v[58:59], v[16:17]
	v_fma_f64 v[12:13], v[62:63], v[14:15], -v[12:13]
	v_fma_f64 v[16:17], v[58:59], v[18:19], -v[2:3]
	v_mul_f64 v[2:3], v[56:57], v[20:21]
	v_add_f64 v[14:15], v[12:13], v[48:49]
	v_add_f64 v[52:53], v[50:51], v[4:5]
	v_fma_f64 v[18:19], v[54:55], v[22:23], -v[2:3]
	v_add_f64 v[0:1], v[52:53], v[14:15]
	v_add_f64 v[6:7], v[16:17], v[18:19]
	;; [unrolled: 1-line block ×3, first 2 shown]
	v_mul_f64 v[30:31], v[56:57], v[22:23]
	v_add_f64 v[2:3], v[10:11], v[0:1]
	v_fmac_f64_e32 v[30:31], v[54:55], v[20:21]
	v_pk_mov_b32 v[20:21], v[2:3], v[2:3] op_sel:[0,1]
	v_fmac_f64_e32 v[20:21], s[24:25], v[0:1]
	v_add_f64 v[0:1], v[14:15], -v[6:7]
	v_mul_f64 v[10:11], v[0:1], s[12:13]
	v_add_f64 v[0:1], v[6:7], -v[52:53]
	v_add_f64 v[28:29], v[24:25], -v[26:27]
	v_mul_f64 v[22:23], v[0:1], s[14:15]
	v_fma_f64 v[0:1], s[14:15], v[0:1], v[10:11]
	v_add_f64 v[24:25], v[24:25], v[26:27]
	v_add_f64 v[26:27], v[38:39], v[40:41]
	v_add_f64 v[34:35], v[30:31], -v[32:33]
	v_add_f64 v[54:55], v[0:1], v[20:21]
	v_add_f64 v[0:1], v[26:27], v[24:25]
	;; [unrolled: 1-line block ×3, first 2 shown]
	v_add_f64 v[42:43], v[38:39], -v[40:41]
	v_add_f64 v[32:33], v[30:31], v[0:1]
	v_add_f64 v[16:17], v[18:19], -v[16:17]
	v_add_f64 v[40:41], v[50:51], -v[4:5]
	v_add_f64 v[0:1], v[8:9], v[32:33]
	v_add_f64 v[8:9], v[24:25], -v[30:31]
	v_add_f64 v[4:5], v[16:17], -v[40:41]
	;; [unrolled: 1-line block ×4, first 2 shown]
	v_add_f64 v[34:35], v[34:35], v[42:43]
	v_pk_mov_b32 v[38:39], v[0:1], v[0:1] op_sel:[0,1]
	v_mul_f64 v[8:9], v[8:9], s[12:13]
	v_add_f64 v[30:31], v[30:31], -v[26:27]
	v_add_f64 v[12:13], v[12:13], -v[48:49]
	v_mul_f64 v[48:49], v[4:5], s[16:17]
	v_add_f64 v[4:5], v[16:17], v[40:41]
	v_add_f64 v[24:25], v[26:27], -v[24:25]
	v_add_f64 v[34:35], v[34:35], v[28:29]
	v_fmac_f64_e32 v[38:39], s[24:25], v[32:33]
	v_mul_f64 v[32:33], v[30:31], s[14:15]
	v_fma_f64 v[30:31], s[14:15], v[30:31], v[8:9]
	v_add_f64 v[18:19], v[12:13], -v[16:17]
	v_add_f64 v[16:17], v[4:5], v[12:13]
	v_add_f64 v[28:29], v[42:43], -v[28:29]
	v_add_f64 v[14:15], v[52:53], -v[14:15]
	v_fma_f64 v[8:9], v[24:25], s[18:19], -v[8:9]
	v_add_f64 v[12:13], v[40:41], -v[12:13]
	v_mul_f64 v[44:45], v[44:45], s[16:17]
	v_mul_f64 v[42:43], v[28:29], s[4:5]
	v_fma_f64 v[10:11], v[14:15], s[18:19], -v[10:11]
	v_add_f64 v[26:27], v[8:9], v[38:39]
	v_mul_f64 v[8:9], v[12:13], s[4:5]
	v_fma_f64 v[14:15], v[14:15], s[6:7], -v[22:23]
	v_fma_f64 v[46:47], s[26:27], v[36:37], v[44:45]
	v_fma_f64 v[50:51], s[26:27], v[18:19], v[48:49]
	v_fma_f64 v[36:37], v[36:37], s[22:23], -v[42:43]
	v_add_f64 v[42:43], v[10:11], v[20:21]
	v_fma_f64 v[40:41], v[18:19], s[22:23], -v[8:9]
	v_add_f64 v[18:19], v[14:15], v[20:21]
	v_fma_f64 v[20:21], v[28:29], s[4:5], -v[44:45]
	v_fma_f64 v[22:23], v[24:25], s[6:7], -v[32:33]
	;; [unrolled: 1-line block ×3, first 2 shown]
	v_fmac_f64_e32 v[46:47], s[20:21], v[34:35]
	v_add_f64 v[30:31], v[30:31], v[38:39]
	v_fmac_f64_e32 v[50:51], s[20:21], v[16:17]
	v_fmac_f64_e32 v[36:37], s[20:21], v[34:35]
	;; [unrolled: 1-line block ×4, first 2 shown]
	v_add_f64 v[22:23], v[22:23], v[38:39]
	v_fmac_f64_e32 v[24:25], s[20:21], v[16:17]
	v_add_f64 v[6:7], v[46:47], v[54:55]
	v_add_f64 v[4:5], v[30:31], -v[50:51]
	v_add_f64 v[10:11], v[36:37], v[42:43]
	v_add_f64 v[8:9], v[26:27], -v[40:41]
	v_add_f64 v[14:15], v[18:19], -v[20:21]
	v_add_f64 v[12:13], v[24:25], v[22:23]
	v_add_f64 v[18:19], v[20:21], v[18:19]
	v_add_f64 v[16:17], v[22:23], -v[24:25]
	v_add_f64 v[22:23], v[42:43], -v[36:37]
	v_add_f64 v[20:21], v[40:41], v[26:27]
	v_add_f64 v[26:27], v[54:55], -v[46:47]
	v_add_f64 v[24:25], v[50:51], v[30:31]
	ds_write_b128 v116, v[0:3] offset:3024
	ds_write_b128 v116, v[24:27] offset:6912
	;; [unrolled: 1-line block ×7, first 2 shown]
.LBB0_9:
	s_or_b64 exec, exec, s[28:29]
	v_accvgpr_read_b32 v2, a90
	v_mad_u64_u32 v[12:13], s[0:1], s10, v2, 0
	v_mov_b32_e32 v0, v13
	v_mad_u64_u32 v[0:1], s[0:1], s11, v2, v[0:1]
	s_waitcnt lgkmcnt(0)
	; wave barrier
	s_waitcnt lgkmcnt(0)
	ds_read_b128 v[4:7], v116
	v_mov_b32_e32 v13, v0
	ds_read_b128 v[0:3], v116 offset:1008
	buffer_load_dword v14, off, s[36:39], 0 offset:488 ; 4-byte Folded Reload
	buffer_load_dword v15, off, s[36:39], 0 offset:492 ; 4-byte Folded Reload
	;; [unrolled: 1-line block ×4, first 2 shown]
	s_mov_b32 s0, 0x9c850ab
	s_mov_b32 s1, 0x3f434393
	v_mov_b32_e32 v22, 0x2370
	v_mov_b32_e32 v23, 0xffffbd10
	s_waitcnt vmcnt(0) lgkmcnt(1)
	v_mul_f64 v[8:9], v[16:17], v[6:7]
	v_fmac_f64_e32 v[8:9], v[14:15], v[4:5]
	v_mul_f64 v[4:5], v[16:17], v[4:5]
	v_fma_f64 v[4:5], v[14:15], v[6:7], -v[4:5]
	v_accvgpr_read_b32 v14, a44
	v_mul_f64 v[10:11], v[4:5], s[0:1]
	v_mad_u64_u32 v[4:5], s[4:5], s8, v14, 0
	v_mov_b32_e32 v6, v5
	v_mad_u64_u32 v[6:7], s[4:5], s9, v14, v[6:7]
	v_mov_b32_e32 v5, v6
	v_lshlrev_b64 v[6:7], 4, v[12:13]
	v_mov_b32_e32 v12, s3
	v_add_co_u32_e32 v14, vcc, s2, v6
	v_addc_co_u32_e32 v15, vcc, v12, v7, vcc
	v_lshlrev_b64 v[12:13], 4, v[4:5]
	v_add_co_u32_e32 v12, vcc, v14, v12
	v_mul_f64 v[8:9], v[8:9], s[0:1]
	v_addc_co_u32_e32 v13, vcc, v15, v13, vcc
	global_store_dwordx4 v[12:13], v[8:11], off
	ds_read_b128 v[4:7], v116 offset:9072
	ds_read_b128 v[8:11], v116 offset:8064
	buffer_load_dword v16, off, s[36:39], 0 offset:16 ; 4-byte Folded Reload
	buffer_load_dword v17, off, s[36:39], 0 offset:20 ; 4-byte Folded Reload
	;; [unrolled: 1-line block ×4, first 2 shown]
	v_mad_u64_u32 v[20:21], s[2:3], s8, v22, v[12:13]
	s_mul_i32 s2, s9, 0x2370
	v_add_u32_e32 v21, s2, v21
	s_mul_i32 s3, s9, 0xffffbd10
	s_sub_i32 s3, s3, s8
	s_waitcnt vmcnt(0) lgkmcnt(1)
	v_mul_f64 v[14:15], v[18:19], v[6:7]
	v_fmac_f64_e32 v[14:15], v[16:17], v[4:5]
	v_mul_f64 v[4:5], v[18:19], v[4:5]
	v_fma_f64 v[4:5], v[16:17], v[6:7], -v[4:5]
	v_mul_f64 v[14:15], v[14:15], s[0:1]
	v_mul_f64 v[16:17], v[4:5], s[0:1]
	global_store_dwordx4 v[20:21], v[14:17], off
	ds_read_b128 v[4:7], v116 offset:18144
	ds_read_b128 v[12:15], v116 offset:19152
	buffer_load_dword v24, off, s[36:39], 0 offset:300 ; 4-byte Folded Reload
	buffer_load_dword v25, off, s[36:39], 0 offset:304 ; 4-byte Folded Reload
	;; [unrolled: 1-line block ×4, first 2 shown]
	v_mad_u64_u32 v[20:21], s[4:5], s8, v22, v[20:21]
	v_add_u32_e32 v21, s2, v21
	s_waitcnt vmcnt(0) lgkmcnt(1)
	v_mul_f64 v[16:17], v[26:27], v[6:7]
	v_fmac_f64_e32 v[16:17], v[24:25], v[4:5]
	v_mul_f64 v[4:5], v[26:27], v[4:5]
	v_fma_f64 v[4:5], v[24:25], v[6:7], -v[4:5]
	v_mul_f64 v[16:17], v[16:17], s[0:1]
	v_mul_f64 v[18:19], v[4:5], s[0:1]
	global_store_dwordx4 v[20:21], v[16:19], off
	buffer_load_dword v16, off, s[36:39], 0 offset:284 ; 4-byte Folded Reload
	s_nop 0
	buffer_load_dword v17, off, s[36:39], 0 offset:288 ; 4-byte Folded Reload
	buffer_load_dword v18, off, s[36:39], 0 offset:292 ; 4-byte Folded Reload
	;; [unrolled: 1-line block ×3, first 2 shown]
	v_mad_u64_u32 v[20:21], s[4:5], s8, v23, v[20:21]
	v_add_u32_e32 v21, s3, v21
	s_waitcnt vmcnt(0)
	v_mul_f64 v[4:5], v[18:19], v[2:3]
	v_fmac_f64_e32 v[4:5], v[16:17], v[0:1]
	v_mul_f64 v[0:1], v[18:19], v[0:1]
	v_fma_f64 v[0:1], v[16:17], v[2:3], -v[0:1]
	v_mul_f64 v[4:5], v[4:5], s[0:1]
	v_mul_f64 v[6:7], v[0:1], s[0:1]
	global_store_dwordx4 v[20:21], v[4:7], off
	ds_read_b128 v[0:3], v116 offset:10080
	ds_read_b128 v[4:7], v116 offset:11088
	buffer_load_dword v24, off, s[36:39], 0 offset:264 ; 4-byte Folded Reload
	buffer_load_dword v25, off, s[36:39], 0 offset:268 ; 4-byte Folded Reload
	;; [unrolled: 1-line block ×4, first 2 shown]
	v_mad_u64_u32 v[20:21], s[4:5], s8, v22, v[20:21]
	v_add_u32_e32 v21, s2, v21
	s_waitcnt vmcnt(0) lgkmcnt(1)
	v_mul_f64 v[16:17], v[26:27], v[2:3]
	v_fmac_f64_e32 v[16:17], v[24:25], v[0:1]
	v_mul_f64 v[0:1], v[26:27], v[0:1]
	v_fma_f64 v[0:1], v[24:25], v[2:3], -v[0:1]
	v_mul_f64 v[16:17], v[16:17], s[0:1]
	v_mul_f64 v[18:19], v[0:1], s[0:1]
	global_store_dwordx4 v[20:21], v[16:19], off
	buffer_load_dword v16, off, s[36:39], 0 offset:244 ; 4-byte Folded Reload
	s_nop 0
	buffer_load_dword v17, off, s[36:39], 0 offset:248 ; 4-byte Folded Reload
	buffer_load_dword v18, off, s[36:39], 0 offset:252 ; 4-byte Folded Reload
	;; [unrolled: 1-line block ×3, first 2 shown]
	v_mad_u64_u32 v[20:21], s[4:5], s8, v22, v[20:21]
	v_add_u32_e32 v21, s2, v21
	s_waitcnt vmcnt(0)
	v_mul_f64 v[0:1], v[18:19], v[14:15]
	v_mul_f64 v[2:3], v[18:19], v[12:13]
	v_fmac_f64_e32 v[0:1], v[16:17], v[12:13]
	v_fma_f64 v[2:3], v[16:17], v[14:15], -v[2:3]
	v_mul_f64 v[0:1], v[0:1], s[0:1]
	v_mul_f64 v[2:3], v[2:3], s[0:1]
	global_store_dwordx4 v[20:21], v[0:3], off
	ds_read_b128 v[12:15], v116 offset:2016
	ds_read_b128 v[0:3], v116 offset:3024
	buffer_load_dword v24, off, s[36:39], 0 offset:204 ; 4-byte Folded Reload
	buffer_load_dword v25, off, s[36:39], 0 offset:208 ; 4-byte Folded Reload
	buffer_load_dword v26, off, s[36:39], 0 offset:212 ; 4-byte Folded Reload
	buffer_load_dword v27, off, s[36:39], 0 offset:216 ; 4-byte Folded Reload
	v_mad_u64_u32 v[20:21], s[4:5], s8, v23, v[20:21]
	v_add_u32_e32 v21, s3, v21
	s_waitcnt vmcnt(0) lgkmcnt(1)
	v_mul_f64 v[16:17], v[26:27], v[14:15]
	v_fmac_f64_e32 v[16:17], v[24:25], v[12:13]
	v_mul_f64 v[12:13], v[26:27], v[12:13]
	v_fma_f64 v[12:13], v[24:25], v[14:15], -v[12:13]
	v_mul_f64 v[16:17], v[16:17], s[0:1]
	v_mul_f64 v[18:19], v[12:13], s[0:1]
	global_store_dwordx4 v[20:21], v[16:19], off
	buffer_load_dword v14, off, s[36:39], 0 offset:160 ; 4-byte Folded Reload
	s_nop 0
	buffer_load_dword v15, off, s[36:39], 0 offset:164 ; 4-byte Folded Reload
	buffer_load_dword v16, off, s[36:39], 0 offset:168 ; 4-byte Folded Reload
	;; [unrolled: 1-line block ×3, first 2 shown]
	v_mad_u64_u32 v[20:21], s[4:5], s8, v22, v[20:21]
	v_add_u32_e32 v21, s2, v21
	s_waitcnt vmcnt(0)
	v_mul_f64 v[12:13], v[16:17], v[6:7]
	v_fmac_f64_e32 v[12:13], v[14:15], v[4:5]
	v_mul_f64 v[4:5], v[16:17], v[4:5]
	v_fma_f64 v[4:5], v[14:15], v[6:7], -v[4:5]
	v_mul_f64 v[12:13], v[12:13], s[0:1]
	v_mul_f64 v[14:15], v[4:5], s[0:1]
	global_store_dwordx4 v[20:21], v[12:15], off
	ds_read_b128 v[4:7], v116 offset:20160
	ds_read_b128 v[12:15], v116 offset:21168
	buffer_load_dword v24, off, s[36:39], 0 offset:124 ; 4-byte Folded Reload
	buffer_load_dword v25, off, s[36:39], 0 offset:128 ; 4-byte Folded Reload
	;; [unrolled: 1-line block ×4, first 2 shown]
	v_mad_u64_u32 v[20:21], s[4:5], s8, v22, v[20:21]
	v_add_u32_e32 v21, s2, v21
	s_waitcnt vmcnt(0) lgkmcnt(1)
	v_mul_f64 v[16:17], v[26:27], v[6:7]
	v_fmac_f64_e32 v[16:17], v[24:25], v[4:5]
	v_mul_f64 v[4:5], v[26:27], v[4:5]
	v_fma_f64 v[4:5], v[24:25], v[6:7], -v[4:5]
	v_mul_f64 v[16:17], v[16:17], s[0:1]
	v_mul_f64 v[18:19], v[4:5], s[0:1]
	global_store_dwordx4 v[20:21], v[16:19], off
	buffer_load_dword v16, off, s[36:39], 0 offset:108 ; 4-byte Folded Reload
	s_nop 0
	buffer_load_dword v17, off, s[36:39], 0 offset:112 ; 4-byte Folded Reload
	buffer_load_dword v18, off, s[36:39], 0 offset:116 ; 4-byte Folded Reload
	;; [unrolled: 1-line block ×3, first 2 shown]
	v_mad_u64_u32 v[20:21], s[4:5], s8, v23, v[20:21]
	v_add_u32_e32 v21, s3, v21
	s_waitcnt vmcnt(0)
	v_mul_f64 v[4:5], v[18:19], v[2:3]
	v_fmac_f64_e32 v[4:5], v[16:17], v[0:1]
	v_mul_f64 v[0:1], v[18:19], v[0:1]
	v_fma_f64 v[0:1], v[16:17], v[2:3], -v[0:1]
	v_mul_f64 v[4:5], v[4:5], s[0:1]
	v_mul_f64 v[6:7], v[0:1], s[0:1]
	global_store_dwordx4 v[20:21], v[4:7], off
	ds_read_b128 v[0:3], v116 offset:12096
	ds_read_b128 v[4:7], v116 offset:13104
	buffer_load_dword v24, off, s[36:39], 0 offset:48 ; 4-byte Folded Reload
	buffer_load_dword v25, off, s[36:39], 0 offset:52 ; 4-byte Folded Reload
	;; [unrolled: 1-line block ×4, first 2 shown]
	v_mad_u64_u32 v[20:21], s[4:5], s8, v22, v[20:21]
	v_add_u32_e32 v21, s2, v21
	s_waitcnt vmcnt(0) lgkmcnt(1)
	v_mul_f64 v[16:17], v[26:27], v[2:3]
	v_fmac_f64_e32 v[16:17], v[24:25], v[0:1]
	v_mul_f64 v[0:1], v[26:27], v[0:1]
	v_fma_f64 v[0:1], v[24:25], v[2:3], -v[0:1]
	v_mul_f64 v[16:17], v[16:17], s[0:1]
	v_mul_f64 v[18:19], v[0:1], s[0:1]
	global_store_dwordx4 v[20:21], v[16:19], off
	buffer_load_dword v16, off, s[36:39], 0 offset:88 ; 4-byte Folded Reload
	s_nop 0
	buffer_load_dword v17, off, s[36:39], 0 offset:92 ; 4-byte Folded Reload
	buffer_load_dword v18, off, s[36:39], 0 offset:96 ; 4-byte Folded Reload
	;; [unrolled: 1-line block ×3, first 2 shown]
	v_mad_u64_u32 v[20:21], s[4:5], s8, v22, v[20:21]
	v_add_u32_e32 v21, s2, v21
	s_waitcnt vmcnt(0)
	v_mul_f64 v[0:1], v[18:19], v[14:15]
	v_mul_f64 v[2:3], v[18:19], v[12:13]
	v_fmac_f64_e32 v[0:1], v[16:17], v[12:13]
	v_fma_f64 v[2:3], v[16:17], v[14:15], -v[2:3]
	v_mul_f64 v[0:1], v[0:1], s[0:1]
	v_mul_f64 v[2:3], v[2:3], s[0:1]
	global_store_dwordx4 v[20:21], v[0:3], off
	ds_read_b128 v[12:15], v116 offset:4032
	ds_read_b128 v[0:3], v116 offset:5040
	buffer_load_dword v24, off, s[36:39], 0 offset:472 ; 4-byte Folded Reload
	buffer_load_dword v25, off, s[36:39], 0 offset:476 ; 4-byte Folded Reload
	;; [unrolled: 1-line block ×4, first 2 shown]
	v_mad_u64_u32 v[20:21], s[4:5], s8, v23, v[20:21]
	v_add_u32_e32 v21, s3, v21
	s_waitcnt vmcnt(0) lgkmcnt(1)
	v_mul_f64 v[16:17], v[26:27], v[14:15]
	v_fmac_f64_e32 v[16:17], v[24:25], v[12:13]
	v_mul_f64 v[12:13], v[26:27], v[12:13]
	v_fma_f64 v[12:13], v[24:25], v[14:15], -v[12:13]
	v_mul_f64 v[16:17], v[16:17], s[0:1]
	v_mul_f64 v[18:19], v[12:13], s[0:1]
	global_store_dwordx4 v[20:21], v[16:19], off
	buffer_load_dword v14, off, s[36:39], 0 offset:456 ; 4-byte Folded Reload
	s_nop 0
	buffer_load_dword v15, off, s[36:39], 0 offset:460 ; 4-byte Folded Reload
	buffer_load_dword v16, off, s[36:39], 0 offset:464 ; 4-byte Folded Reload
	;; [unrolled: 1-line block ×3, first 2 shown]
	v_mad_u64_u32 v[20:21], s[4:5], s8, v22, v[20:21]
	v_add_u32_e32 v21, s2, v21
	s_waitcnt vmcnt(0)
	v_mul_f64 v[12:13], v[16:17], v[6:7]
	v_fmac_f64_e32 v[12:13], v[14:15], v[4:5]
	v_mul_f64 v[4:5], v[16:17], v[4:5]
	v_fma_f64 v[4:5], v[14:15], v[6:7], -v[4:5]
	v_mul_f64 v[12:13], v[12:13], s[0:1]
	v_mul_f64 v[14:15], v[4:5], s[0:1]
	global_store_dwordx4 v[20:21], v[12:15], off
	ds_read_b128 v[4:7], v116 offset:22176
	ds_read_b128 v[12:15], v116 offset:23184
	buffer_load_dword v24, off, s[36:39], 0 offset:440 ; 4-byte Folded Reload
	buffer_load_dword v25, off, s[36:39], 0 offset:444 ; 4-byte Folded Reload
	;; [unrolled: 1-line block ×4, first 2 shown]
	v_mad_u64_u32 v[20:21], s[4:5], s8, v22, v[20:21]
	v_add_u32_e32 v21, s2, v21
	s_waitcnt vmcnt(0) lgkmcnt(1)
	v_mul_f64 v[16:17], v[26:27], v[6:7]
	v_fmac_f64_e32 v[16:17], v[24:25], v[4:5]
	v_mul_f64 v[4:5], v[26:27], v[4:5]
	v_fma_f64 v[4:5], v[24:25], v[6:7], -v[4:5]
	v_mul_f64 v[16:17], v[16:17], s[0:1]
	v_mul_f64 v[18:19], v[4:5], s[0:1]
	global_store_dwordx4 v[20:21], v[16:19], off
	buffer_load_dword v16, off, s[36:39], 0 offset:424 ; 4-byte Folded Reload
	s_nop 0
	buffer_load_dword v17, off, s[36:39], 0 offset:428 ; 4-byte Folded Reload
	buffer_load_dword v18, off, s[36:39], 0 offset:432 ; 4-byte Folded Reload
	;; [unrolled: 1-line block ×3, first 2 shown]
	v_mad_u64_u32 v[20:21], s[4:5], s8, v23, v[20:21]
	v_add_u32_e32 v21, s3, v21
	s_waitcnt vmcnt(0)
	v_mul_f64 v[4:5], v[18:19], v[2:3]
	v_fmac_f64_e32 v[4:5], v[16:17], v[0:1]
	v_mul_f64 v[0:1], v[18:19], v[0:1]
	v_fma_f64 v[0:1], v[16:17], v[2:3], -v[0:1]
	v_mul_f64 v[4:5], v[4:5], s[0:1]
	v_mul_f64 v[6:7], v[0:1], s[0:1]
	global_store_dwordx4 v[20:21], v[4:7], off
	ds_read_b128 v[0:3], v116 offset:14112
	ds_read_b128 v[4:7], v116 offset:15120
	buffer_load_dword v24, off, s[36:39], 0 offset:408 ; 4-byte Folded Reload
	buffer_load_dword v25, off, s[36:39], 0 offset:412 ; 4-byte Folded Reload
	;; [unrolled: 1-line block ×4, first 2 shown]
	v_mad_u64_u32 v[20:21], s[4:5], s8, v22, v[20:21]
	v_add_u32_e32 v21, s2, v21
	s_waitcnt vmcnt(0) lgkmcnt(1)
	v_mul_f64 v[16:17], v[26:27], v[2:3]
	v_fmac_f64_e32 v[16:17], v[24:25], v[0:1]
	v_mul_f64 v[0:1], v[26:27], v[0:1]
	v_fma_f64 v[0:1], v[24:25], v[2:3], -v[0:1]
	v_mul_f64 v[16:17], v[16:17], s[0:1]
	v_mul_f64 v[18:19], v[0:1], s[0:1]
	global_store_dwordx4 v[20:21], v[16:19], off
	buffer_load_dword v16, off, s[36:39], 0 offset:392 ; 4-byte Folded Reload
	s_nop 0
	buffer_load_dword v17, off, s[36:39], 0 offset:396 ; 4-byte Folded Reload
	buffer_load_dword v18, off, s[36:39], 0 offset:400 ; 4-byte Folded Reload
	;; [unrolled: 1-line block ×3, first 2 shown]
	v_mad_u64_u32 v[20:21], s[4:5], s8, v22, v[20:21]
	v_add_u32_e32 v21, s2, v21
	s_waitcnt vmcnt(0)
	v_mul_f64 v[0:1], v[18:19], v[14:15]
	v_mul_f64 v[2:3], v[18:19], v[12:13]
	v_fmac_f64_e32 v[0:1], v[16:17], v[12:13]
	v_fma_f64 v[2:3], v[16:17], v[14:15], -v[2:3]
	v_mul_f64 v[0:1], v[0:1], s[0:1]
	v_mul_f64 v[2:3], v[2:3], s[0:1]
	global_store_dwordx4 v[20:21], v[0:3], off
	ds_read_b128 v[12:15], v116 offset:6048
	ds_read_b128 v[0:3], v116 offset:7056
	buffer_load_dword v24, off, s[36:39], 0 offset:376 ; 4-byte Folded Reload
	buffer_load_dword v25, off, s[36:39], 0 offset:380 ; 4-byte Folded Reload
	;; [unrolled: 1-line block ×4, first 2 shown]
	v_mad_u64_u32 v[20:21], s[4:5], s8, v23, v[20:21]
	v_add_u32_e32 v21, s3, v21
	s_waitcnt vmcnt(0) lgkmcnt(1)
	v_mul_f64 v[16:17], v[26:27], v[14:15]
	v_fmac_f64_e32 v[16:17], v[24:25], v[12:13]
	v_mul_f64 v[12:13], v[26:27], v[12:13]
	v_fma_f64 v[12:13], v[24:25], v[14:15], -v[12:13]
	v_mul_f64 v[16:17], v[16:17], s[0:1]
	v_mul_f64 v[18:19], v[12:13], s[0:1]
	global_store_dwordx4 v[20:21], v[16:19], off
	buffer_load_dword v14, off, s[36:39], 0 offset:356 ; 4-byte Folded Reload
	s_nop 0
	buffer_load_dword v15, off, s[36:39], 0 offset:360 ; 4-byte Folded Reload
	buffer_load_dword v16, off, s[36:39], 0 offset:364 ; 4-byte Folded Reload
	;; [unrolled: 1-line block ×3, first 2 shown]
	v_mad_u64_u32 v[20:21], s[4:5], s8, v22, v[20:21]
	v_add_u32_e32 v21, s2, v21
	s_waitcnt vmcnt(0)
	v_mul_f64 v[12:13], v[16:17], v[6:7]
	v_fmac_f64_e32 v[12:13], v[14:15], v[4:5]
	v_mul_f64 v[4:5], v[16:17], v[4:5]
	v_fma_f64 v[4:5], v[14:15], v[6:7], -v[4:5]
	v_mul_f64 v[12:13], v[12:13], s[0:1]
	v_mul_f64 v[14:15], v[4:5], s[0:1]
	global_store_dwordx4 v[20:21], v[12:15], off
	ds_read_b128 v[4:7], v116 offset:24192
	ds_read_b128 v[12:15], v116 offset:25200
	buffer_load_dword v24, off, s[36:39], 0 offset:336 ; 4-byte Folded Reload
	buffer_load_dword v25, off, s[36:39], 0 offset:340 ; 4-byte Folded Reload
	;; [unrolled: 1-line block ×4, first 2 shown]
	v_mad_u64_u32 v[20:21], s[4:5], s8, v22, v[20:21]
	v_add_u32_e32 v21, s2, v21
	s_waitcnt vmcnt(0) lgkmcnt(1)
	v_mul_f64 v[16:17], v[26:27], v[6:7]
	v_fmac_f64_e32 v[16:17], v[24:25], v[4:5]
	v_mul_f64 v[4:5], v[26:27], v[4:5]
	v_fma_f64 v[4:5], v[24:25], v[6:7], -v[4:5]
	v_mul_f64 v[16:17], v[16:17], s[0:1]
	v_mul_f64 v[18:19], v[4:5], s[0:1]
	global_store_dwordx4 v[20:21], v[16:19], off
	buffer_load_dword v16, off, s[36:39], 0 offset:320 ; 4-byte Folded Reload
	s_nop 0
	buffer_load_dword v17, off, s[36:39], 0 offset:324 ; 4-byte Folded Reload
	buffer_load_dword v18, off, s[36:39], 0 offset:328 ; 4-byte Folded Reload
	;; [unrolled: 1-line block ×3, first 2 shown]
	v_mad_u64_u32 v[20:21], s[4:5], s8, v23, v[20:21]
	v_add_u32_e32 v21, s3, v21
	s_waitcnt vmcnt(0)
	v_mul_f64 v[4:5], v[18:19], v[2:3]
	v_fmac_f64_e32 v[4:5], v[16:17], v[0:1]
	v_mul_f64 v[0:1], v[18:19], v[0:1]
	v_fma_f64 v[0:1], v[16:17], v[2:3], -v[0:1]
	v_mul_f64 v[4:5], v[4:5], s[0:1]
	v_mul_f64 v[6:7], v[0:1], s[0:1]
	global_store_dwordx4 v[20:21], v[4:7], off
	ds_read_b128 v[0:3], v116 offset:16128
	ds_read_b128 v[4:7], v116 offset:17136
	buffer_load_dword v24, off, s[36:39], 0 offset:224 ; 4-byte Folded Reload
	buffer_load_dword v25, off, s[36:39], 0 offset:228 ; 4-byte Folded Reload
	;; [unrolled: 1-line block ×4, first 2 shown]
	v_mad_u64_u32 v[20:21], s[4:5], s8, v22, v[20:21]
	v_add_u32_e32 v21, s2, v21
	s_waitcnt vmcnt(0) lgkmcnt(1)
	v_mul_f64 v[16:17], v[26:27], v[2:3]
	v_fmac_f64_e32 v[16:17], v[24:25], v[0:1]
	v_mul_f64 v[0:1], v[26:27], v[0:1]
	v_fma_f64 v[0:1], v[24:25], v[2:3], -v[0:1]
	v_mul_f64 v[16:17], v[16:17], s[0:1]
	v_mul_f64 v[18:19], v[0:1], s[0:1]
	global_store_dwordx4 v[20:21], v[16:19], off
	buffer_load_dword v16, off, s[36:39], 0 offset:184 ; 4-byte Folded Reload
	s_nop 0
	buffer_load_dword v17, off, s[36:39], 0 offset:188 ; 4-byte Folded Reload
	buffer_load_dword v18, off, s[36:39], 0 offset:192 ; 4-byte Folded Reload
	;; [unrolled: 1-line block ×3, first 2 shown]
	s_waitcnt vmcnt(0)
	v_mul_f64 v[0:1], v[18:19], v[14:15]
	v_mul_f64 v[2:3], v[18:19], v[12:13]
	v_fmac_f64_e32 v[0:1], v[16:17], v[12:13]
	v_fma_f64 v[2:3], v[16:17], v[14:15], -v[2:3]
	v_mad_u64_u32 v[12:13], s[4:5], s8, v22, v[20:21]
	v_mul_f64 v[0:1], v[0:1], s[0:1]
	v_mul_f64 v[2:3], v[2:3], s[0:1]
	v_add_u32_e32 v13, s2, v13
	global_store_dwordx4 v[12:13], v[0:3], off
	buffer_load_dword v14, off, s[36:39], 0 offset:144 ; 4-byte Folded Reload
	buffer_load_dword v15, off, s[36:39], 0 offset:148 ; 4-byte Folded Reload
	;; [unrolled: 1-line block ×4, first 2 shown]
	s_waitcnt vmcnt(0)
	v_mul_f64 v[0:1], v[16:17], v[10:11]
	v_mul_f64 v[2:3], v[16:17], v[8:9]
	v_fmac_f64_e32 v[0:1], v[14:15], v[8:9]
	v_fma_f64 v[2:3], v[14:15], v[10:11], -v[2:3]
	v_mad_u64_u32 v[8:9], s[4:5], s8, v23, v[12:13]
	v_mul_f64 v[0:1], v[0:1], s[0:1]
	v_mul_f64 v[2:3], v[2:3], s[0:1]
	v_add_u32_e32 v9, s3, v9
	global_store_dwordx4 v[8:9], v[0:3], off
	buffer_load_dword v10, off, s[36:39], 0 offset:72 ; 4-byte Folded Reload
	buffer_load_dword v11, off, s[36:39], 0 offset:76 ; 4-byte Folded Reload
	buffer_load_dword v12, off, s[36:39], 0 offset:80 ; 4-byte Folded Reload
	buffer_load_dword v13, off, s[36:39], 0 offset:84 ; 4-byte Folded Reload
	v_mad_u64_u32 v[8:9], s[4:5], s8, v22, v[8:9]
	v_add_u32_e32 v9, s2, v9
	s_waitcnt vmcnt(0) lgkmcnt(0)
	v_mul_f64 v[0:1], v[12:13], v[6:7]
	v_mul_f64 v[2:3], v[12:13], v[4:5]
	v_fmac_f64_e32 v[0:1], v[10:11], v[4:5]
	v_fma_f64 v[2:3], v[10:11], v[6:7], -v[2:3]
	v_mul_f64 v[0:1], v[0:1], s[0:1]
	v_mul_f64 v[2:3], v[2:3], s[0:1]
	global_store_dwordx4 v[8:9], v[0:3], off
	ds_read_b128 v[4:7], v116 offset:26208
	buffer_load_dword v10, off, s[36:39], 0 offset:32 ; 4-byte Folded Reload
	buffer_load_dword v11, off, s[36:39], 0 offset:36 ; 4-byte Folded Reload
	;; [unrolled: 1-line block ×4, first 2 shown]
	s_waitcnt vmcnt(0) lgkmcnt(0)
	v_mul_f64 v[0:1], v[12:13], v[6:7]
	v_mul_f64 v[2:3], v[12:13], v[4:5]
	v_fmac_f64_e32 v[0:1], v[10:11], v[4:5]
	v_fma_f64 v[2:3], v[10:11], v[6:7], -v[2:3]
	v_mul_f64 v[0:1], v[0:1], s[0:1]
	v_mul_f64 v[2:3], v[2:3], s[0:1]
	v_mad_u64_u32 v[4:5], s[0:1], s8, v22, v[8:9]
	v_add_u32_e32 v5, s2, v5
	global_store_dwordx4 v[4:5], v[0:3], off
.LBB0_10:
	s_endpgm
	.section	.rodata,"a",@progbits
	.p2align	6, 0x0
	.amdhsa_kernel bluestein_single_fwd_len1701_dim1_dp_op_CI_CI
		.amdhsa_group_segment_fixed_size 27216
		.amdhsa_private_segment_fixed_size 832
		.amdhsa_kernarg_size 104
		.amdhsa_user_sgpr_count 6
		.amdhsa_user_sgpr_private_segment_buffer 1
		.amdhsa_user_sgpr_dispatch_ptr 0
		.amdhsa_user_sgpr_queue_ptr 0
		.amdhsa_user_sgpr_kernarg_segment_ptr 1
		.amdhsa_user_sgpr_dispatch_id 0
		.amdhsa_user_sgpr_flat_scratch_init 0
		.amdhsa_user_sgpr_kernarg_preload_length 0
		.amdhsa_user_sgpr_kernarg_preload_offset 0
		.amdhsa_user_sgpr_private_segment_size 0
		.amdhsa_uses_dynamic_stack 0
		.amdhsa_system_sgpr_private_segment_wavefront_offset 1
		.amdhsa_system_sgpr_workgroup_id_x 1
		.amdhsa_system_sgpr_workgroup_id_y 0
		.amdhsa_system_sgpr_workgroup_id_z 0
		.amdhsa_system_sgpr_workgroup_info 0
		.amdhsa_system_vgpr_workitem_id 0
		.amdhsa_next_free_vgpr 512
		.amdhsa_next_free_sgpr 40
		.amdhsa_accum_offset 256
		.amdhsa_reserve_vcc 1
		.amdhsa_reserve_flat_scratch 0
		.amdhsa_float_round_mode_32 0
		.amdhsa_float_round_mode_16_64 0
		.amdhsa_float_denorm_mode_32 3
		.amdhsa_float_denorm_mode_16_64 3
		.amdhsa_dx10_clamp 1
		.amdhsa_ieee_mode 1
		.amdhsa_fp16_overflow 0
		.amdhsa_tg_split 0
		.amdhsa_exception_fp_ieee_invalid_op 0
		.amdhsa_exception_fp_denorm_src 0
		.amdhsa_exception_fp_ieee_div_zero 0
		.amdhsa_exception_fp_ieee_overflow 0
		.amdhsa_exception_fp_ieee_underflow 0
		.amdhsa_exception_fp_ieee_inexact 0
		.amdhsa_exception_int_div_zero 0
	.end_amdhsa_kernel
	.text
.Lfunc_end0:
	.size	bluestein_single_fwd_len1701_dim1_dp_op_CI_CI, .Lfunc_end0-bluestein_single_fwd_len1701_dim1_dp_op_CI_CI
                                        ; -- End function
	.section	.AMDGPU.csdata,"",@progbits
; Kernel info:
; codeLenInByte = 41956
; NumSgprs: 44
; NumVgprs: 256
; NumAgprs: 256
; TotalNumVgprs: 512
; ScratchSize: 832
; MemoryBound: 0
; FloatMode: 240
; IeeeMode: 1
; LDSByteSize: 27216 bytes/workgroup (compile time only)
; SGPRBlocks: 5
; VGPRBlocks: 63
; NumSGPRsForWavesPerEU: 44
; NumVGPRsForWavesPerEU: 512
; AccumOffset: 256
; Occupancy: 1
; WaveLimiterHint : 1
; COMPUTE_PGM_RSRC2:SCRATCH_EN: 1
; COMPUTE_PGM_RSRC2:USER_SGPR: 6
; COMPUTE_PGM_RSRC2:TRAP_HANDLER: 0
; COMPUTE_PGM_RSRC2:TGID_X_EN: 1
; COMPUTE_PGM_RSRC2:TGID_Y_EN: 0
; COMPUTE_PGM_RSRC2:TGID_Z_EN: 0
; COMPUTE_PGM_RSRC2:TIDIG_COMP_CNT: 0
; COMPUTE_PGM_RSRC3_GFX90A:ACCUM_OFFSET: 63
; COMPUTE_PGM_RSRC3_GFX90A:TG_SPLIT: 0
	.text
	.p2alignl 6, 3212836864
	.fill 256, 4, 3212836864
	.type	__hip_cuid_25e7bc11119beee9,@object ; @__hip_cuid_25e7bc11119beee9
	.section	.bss,"aw",@nobits
	.globl	__hip_cuid_25e7bc11119beee9
__hip_cuid_25e7bc11119beee9:
	.byte	0                               ; 0x0
	.size	__hip_cuid_25e7bc11119beee9, 1

	.ident	"AMD clang version 19.0.0git (https://github.com/RadeonOpenCompute/llvm-project roc-6.4.0 25133 c7fe45cf4b819c5991fe208aaa96edf142730f1d)"
	.section	".note.GNU-stack","",@progbits
	.addrsig
	.addrsig_sym __hip_cuid_25e7bc11119beee9
	.amdgpu_metadata
---
amdhsa.kernels:
  - .agpr_count:     256
    .args:
      - .actual_access:  read_only
        .address_space:  global
        .offset:         0
        .size:           8
        .value_kind:     global_buffer
      - .actual_access:  read_only
        .address_space:  global
        .offset:         8
        .size:           8
        .value_kind:     global_buffer
      - .actual_access:  read_only
        .address_space:  global
        .offset:         16
        .size:           8
        .value_kind:     global_buffer
      - .actual_access:  read_only
        .address_space:  global
        .offset:         24
        .size:           8
        .value_kind:     global_buffer
      - .actual_access:  read_only
        .address_space:  global
        .offset:         32
        .size:           8
        .value_kind:     global_buffer
      - .offset:         40
        .size:           8
        .value_kind:     by_value
      - .address_space:  global
        .offset:         48
        .size:           8
        .value_kind:     global_buffer
      - .address_space:  global
        .offset:         56
        .size:           8
        .value_kind:     global_buffer
      - .address_space:  global
        .offset:         64
        .size:           8
        .value_kind:     global_buffer
      - .address_space:  global
        .offset:         72
        .size:           8
        .value_kind:     global_buffer
      - .offset:         80
        .size:           4
        .value_kind:     by_value
      - .address_space:  global
        .offset:         88
        .size:           8
        .value_kind:     global_buffer
      - .address_space:  global
        .offset:         96
        .size:           8
        .value_kind:     global_buffer
    .group_segment_fixed_size: 27216
    .kernarg_segment_align: 8
    .kernarg_segment_size: 104
    .language:       OpenCL C
    .language_version:
      - 2
      - 0
    .max_flat_workgroup_size: 63
    .name:           bluestein_single_fwd_len1701_dim1_dp_op_CI_CI
    .private_segment_fixed_size: 832
    .sgpr_count:     44
    .sgpr_spill_count: 0
    .symbol:         bluestein_single_fwd_len1701_dim1_dp_op_CI_CI.kd
    .uniform_work_group_size: 1
    .uses_dynamic_stack: false
    .vgpr_count:     512
    .vgpr_spill_count: 207
    .wavefront_size: 64
amdhsa.target:   amdgcn-amd-amdhsa--gfx90a
amdhsa.version:
  - 1
  - 2
...

	.end_amdgpu_metadata
